;; amdgpu-corpus repo=ROCm/rocFFT kind=compiled arch=gfx1030 opt=O3
	.text
	.amdgcn_target "amdgcn-amd-amdhsa--gfx1030"
	.amdhsa_code_object_version 6
	.protected	bluestein_single_back_len1071_dim1_dp_op_CI_CI ; -- Begin function bluestein_single_back_len1071_dim1_dp_op_CI_CI
	.globl	bluestein_single_back_len1071_dim1_dp_op_CI_CI
	.p2align	8
	.type	bluestein_single_back_len1071_dim1_dp_op_CI_CI,@function
bluestein_single_back_len1071_dim1_dp_op_CI_CI: ; @bluestein_single_back_len1071_dim1_dp_op_CI_CI
; %bb.0:
	v_mul_u32_u24_e32 v1, 0x227, v0
	s_mov_b64 s[62:63], s[2:3]
	s_mov_b64 s[60:61], s[0:1]
	s_load_dwordx4 s[0:3], s[4:5], 0x28
	s_add_u32 s60, s60, s7
	v_lshrrev_b32_e32 v1, 16, v1
	s_addc_u32 s61, s61, 0
	v_mov_b32_e32 v4, 0
	v_add_nc_u32_e32 v3, s6, v1
	v_mov_b32_e32 v2, v3
	buffer_store_dword v2, off, s[60:63], 0 offset:4 ; 4-byte Folded Spill
	buffer_store_dword v3, off, s[60:63], 0 offset:8 ; 4-byte Folded Spill
	s_waitcnt lgkmcnt(0)
	v_cmp_gt_u64_e32 vcc_lo, s[0:1], v[3:4]
	s_and_saveexec_b32 s0, vcc_lo
	s_cbranch_execz .LBB0_23
; %bb.1:
	s_clause 0x1
	s_load_dwordx2 s[12:13], s[4:5], 0x0
	s_load_dwordx2 s[14:15], s[4:5], 0x38
	v_mul_lo_u16 v1, 0x77, v1
	v_sub_nc_u16 v0, v0, v1
	v_and_b32_e32 v1, 0xffff, v0
	v_cmp_gt_u16_e32 vcc_lo, 63, v0
	v_lshlrev_b32_e32 v255, 4, v1
	buffer_store_dword v1, off, s[60:63], 0 ; 4-byte Folded Spill
	s_and_saveexec_b32 s1, vcc_lo
	s_cbranch_execz .LBB0_3
; %bb.2:
	s_load_dwordx2 s[6:7], s[4:5], 0x18
	s_waitcnt lgkmcnt(0)
	v_add_co_u32 v18, s0, s12, v255
	v_add_co_ci_u32_e64 v19, null, s13, 0, s0
	v_add_co_u32 v16, s0, 0x800, v18
	v_add_co_ci_u32_e64 v17, s0, 0, v19, s0
	v_add_co_u32 v24, s0, 0x1000, v18
	v_add_co_ci_u32_e64 v25, s0, 0, v19, s0
	;; [unrolled: 2-line block ×3, first 2 shown]
	v_add_co_u32 v40, s0, 0x2000, v18
	s_load_dwordx4 s[8:11], s[6:7], 0x0
	s_clause 0x2
	global_load_dwordx4 v[0:3], v255, s[12:13]
	global_load_dwordx4 v[4:7], v255, s[12:13] offset:1008
	global_load_dwordx4 v[8:11], v255, s[12:13] offset:2016
	s_clause 0x2
	buffer_load_dword v12, off, s[60:63], 0 offset:4
	buffer_load_dword v13, off, s[60:63], 0 offset:8
	buffer_load_dword v20, off, s[60:63], 0
	v_add_co_ci_u32_e64 v41, s0, 0, v19, s0
	v_add_co_u32 v48, s0, 0x2800, v18
	v_add_co_ci_u32_e64 v49, s0, 0, v19, s0
	v_add_co_u32 v56, s0, 0x3000, v18
	;; [unrolled: 2-line block ×3, first 2 shown]
	v_add_co_ci_u32_e64 v129, s0, 0, v19, s0
	s_waitcnt lgkmcnt(0)
	s_mul_i32 s6, s9, 0x3f0
	s_mul_hi_u32 s7, s8, 0x3f0
	s_add_i32 s7, s7, s6
	s_waitcnt vmcnt(2)
	v_mov_b32_e32 v14, v12
	s_waitcnt vmcnt(0)
	v_mad_u64_u32 v[36:37], null, s8, v20, 0
	v_mad_u64_u32 v[28:29], null, s10, v14, 0
	v_mov_b32_e32 v13, v37
	v_mov_b32_e32 v12, v29
	v_mad_u64_u32 v[14:15], null, s11, v14, v[12:13]
	v_mad_u64_u32 v[30:31], null, s9, v20, v[13:14]
	v_mov_b32_e32 v29, v14
	s_clause 0x3
	global_load_dwordx4 v[12:15], v[16:17], off offset:976
	global_load_dwordx4 v[16:19], v[16:17], off offset:1984
	;; [unrolled: 1-line block ×4, first 2 shown]
	v_lshlrev_b64 v[38:39], 4, v[28:29]
	v_mov_b32_e32 v37, v30
	s_clause 0x1
	global_load_dwordx4 v[28:31], v[32:33], off offset:912
	global_load_dwordx4 v[32:35], v[32:33], off offset:1920
	v_lshlrev_b64 v[36:37], 4, v[36:37]
	v_add_co_u32 v38, s0, s2, v38
	v_add_co_ci_u32_e64 v39, s0, s3, v39, s0
	s_mul_i32 s2, s8, 0x3f0
	v_add_co_u32 v60, s0, v38, v36
	v_add_co_ci_u32_e64 v61, s0, v39, v37, s0
	s_clause 0x1
	global_load_dwordx4 v[36:39], v[40:41], off offset:880
	global_load_dwordx4 v[40:43], v[40:41], off offset:1888
	v_add_co_u32 v64, s0, v60, s2
	v_add_co_ci_u32_e64 v65, s0, s7, v61, s0
	s_clause 0x1
	global_load_dwordx4 v[44:47], v[48:49], off offset:848
	global_load_dwordx4 v[48:51], v[48:49], off offset:1856
	;; [unrolled: 5-line block ×3, first 2 shown]
	v_add_co_u32 v72, s0, v68, s2
	v_add_co_ci_u32_e64 v73, s0, s7, v69, s0
	s_clause 0x1
	global_load_dwordx4 v[60:63], v[60:61], off
	global_load_dwordx4 v[64:67], v[64:65], off
	v_add_co_u32 v76, s0, v72, s2
	v_add_co_ci_u32_e64 v77, s0, s7, v73, s0
	s_clause 0x1
	global_load_dwordx4 v[68:71], v[68:69], off
	global_load_dwordx4 v[72:75], v[72:73], off
	v_add_co_u32 v80, s0, v76, s2
	v_add_co_ci_u32_e64 v81, s0, s7, v77, s0
	global_load_dwordx4 v[76:79], v[76:77], off
	v_add_co_u32 v84, s0, v80, s2
	v_add_co_ci_u32_e64 v85, s0, s7, v81, s0
	global_load_dwordx4 v[80:83], v[80:81], off
	v_add_co_u32 v88, s0, v84, s2
	v_add_co_ci_u32_e64 v89, s0, s7, v85, s0
	global_load_dwordx4 v[84:87], v[84:85], off
	v_add_co_u32 v92, s0, v88, s2
	v_add_co_ci_u32_e64 v93, s0, s7, v89, s0
	global_load_dwordx4 v[88:91], v[88:89], off
	v_add_co_u32 v96, s0, v92, s2
	v_add_co_ci_u32_e64 v97, s0, s7, v93, s0
	global_load_dwordx4 v[92:95], v[92:93], off
	v_add_co_u32 v100, s0, v96, s2
	v_add_co_ci_u32_e64 v101, s0, s7, v97, s0
	global_load_dwordx4 v[96:99], v[96:97], off
	v_add_co_u32 v104, s0, v100, s2
	v_add_co_ci_u32_e64 v105, s0, s7, v101, s0
	global_load_dwordx4 v[100:103], v[100:101], off
	v_add_co_u32 v108, s0, v104, s2
	v_add_co_ci_u32_e64 v109, s0, s7, v105, s0
	global_load_dwordx4 v[104:107], v[104:105], off
	v_add_co_u32 v112, s0, v108, s2
	v_add_co_ci_u32_e64 v113, s0, s7, v109, s0
	global_load_dwordx4 v[108:111], v[108:109], off
	v_add_co_u32 v116, s0, v112, s2
	v_add_co_ci_u32_e64 v117, s0, s7, v113, s0
	global_load_dwordx4 v[112:115], v[112:113], off
	v_add_co_u32 v120, s0, v116, s2
	v_add_co_ci_u32_e64 v121, s0, s7, v117, s0
	v_add_co_u32 v132, s0, v120, s2
	v_add_co_ci_u32_e64 v133, s0, s7, v121, s0
	global_load_dwordx4 v[116:119], v[116:117], off
	global_load_dwordx4 v[120:123], v[120:121], off
	s_clause 0x1
	global_load_dwordx4 v[124:127], v[128:129], off offset:784
	global_load_dwordx4 v[128:131], v[128:129], off offset:1792
	global_load_dwordx4 v[132:135], v[132:133], off
	s_waitcnt vmcnt(18)
	v_mul_f64 v[136:137], v[62:63], v[2:3]
	v_mul_f64 v[2:3], v[60:61], v[2:3]
	s_waitcnt vmcnt(17)
	v_mul_f64 v[138:139], v[66:67], v[6:7]
	v_mul_f64 v[6:7], v[64:65], v[6:7]
	;; [unrolled: 3-line block ×6, first 2 shown]
	v_fma_f64 v[60:61], v[60:61], v[0:1], v[136:137]
	v_fma_f64 v[62:63], v[62:63], v[0:1], -v[2:3]
	v_fma_f64 v[0:1], v[64:65], v[4:5], v[138:139]
	s_waitcnt vmcnt(12)
	v_mul_f64 v[64:65], v[86:87], v[26:27]
	v_mul_f64 v[26:27], v[84:85], v[26:27]
	v_fma_f64 v[2:3], v[66:67], v[4:5], -v[6:7]
	s_waitcnt vmcnt(11)
	v_mul_f64 v[66:67], v[90:91], v[30:31]
	v_mul_f64 v[30:31], v[88:89], v[30:31]
	v_fma_f64 v[4:5], v[68:69], v[8:9], v[140:141]
	s_waitcnt vmcnt(10)
	v_mul_f64 v[68:69], v[94:95], v[34:35]
	v_mul_f64 v[34:35], v[92:93], v[34:35]
	v_fma_f64 v[6:7], v[70:71], v[8:9], -v[10:11]
	v_fma_f64 v[8:9], v[72:73], v[12:13], v[142:143]
	v_fma_f64 v[10:11], v[74:75], v[12:13], -v[14:15]
	s_waitcnt vmcnt(9)
	v_mul_f64 v[70:71], v[98:99], v[38:39]
	v_mul_f64 v[38:39], v[96:97], v[38:39]
	v_fma_f64 v[12:13], v[76:77], v[16:17], v[144:145]
	v_fma_f64 v[14:15], v[78:79], v[16:17], -v[18:19]
	v_fma_f64 v[16:17], v[80:81], v[20:21], v[146:147]
	s_waitcnt vmcnt(8)
	v_mul_f64 v[72:73], v[102:103], v[42:43]
	v_mul_f64 v[42:43], v[100:101], v[42:43]
	v_fma_f64 v[18:19], v[82:83], v[20:21], -v[22:23]
	s_waitcnt vmcnt(7)
	v_mul_f64 v[74:75], v[106:107], v[46:47]
	v_mul_f64 v[46:47], v[104:105], v[46:47]
	v_fma_f64 v[20:21], v[84:85], v[24:25], v[64:65]
	v_fma_f64 v[22:23], v[86:87], v[24:25], -v[26:27]
	v_fma_f64 v[24:25], v[88:89], v[28:29], v[66:67]
	s_waitcnt vmcnt(6)
	v_mul_f64 v[76:77], v[110:111], v[50:51]
	v_mul_f64 v[50:51], v[108:109], v[50:51]
	v_fma_f64 v[26:27], v[90:91], v[28:29], -v[30:31]
	v_fma_f64 v[28:29], v[92:93], v[32:33], v[68:69]
	v_fma_f64 v[30:31], v[94:95], v[32:33], -v[34:35]
	s_waitcnt vmcnt(5)
	v_mul_f64 v[78:79], v[114:115], v[54:55]
	v_mul_f64 v[54:55], v[112:113], v[54:55]
	v_fma_f64 v[32:33], v[96:97], v[36:37], v[70:71]
	v_fma_f64 v[34:35], v[98:99], v[36:37], -v[38:39]
	s_waitcnt vmcnt(4)
	v_mul_f64 v[80:81], v[118:119], v[58:59]
	v_mul_f64 v[58:59], v[116:117], v[58:59]
	s_waitcnt vmcnt(2)
	v_mul_f64 v[82:83], v[122:123], v[126:127]
	v_mul_f64 v[126:127], v[120:121], v[126:127]
	;; [unrolled: 3-line block ×3, first 2 shown]
	v_fma_f64 v[36:37], v[100:101], v[40:41], v[72:73]
	v_fma_f64 v[38:39], v[102:103], v[40:41], -v[42:43]
	v_fma_f64 v[40:41], v[104:105], v[44:45], v[74:75]
	v_fma_f64 v[42:43], v[106:107], v[44:45], -v[46:47]
	;; [unrolled: 2-line block ×7, first 2 shown]
	ds_write_b128 v255, v[60:63]
	ds_write_b128 v255, v[0:3] offset:1008
	ds_write_b128 v255, v[4:7] offset:2016
	;; [unrolled: 1-line block ×16, first 2 shown]
.LBB0_3:
	s_or_b32 exec_lo, exec_lo, s1
	s_waitcnt lgkmcnt(0)
	s_waitcnt_vscnt null, 0x0
	s_barrier
	buffer_gl0_inv
                                        ; implicit-def: $vgpr20_vgpr21
                                        ; implicit-def: $vgpr36_vgpr37
                                        ; implicit-def: $vgpr40_vgpr41
                                        ; implicit-def: $vgpr44_vgpr45
                                        ; implicit-def: $vgpr48_vgpr49
                                        ; implicit-def: $vgpr52_vgpr53
                                        ; implicit-def: $vgpr56_vgpr57
                                        ; implicit-def: $vgpr76_vgpr77
                                        ; implicit-def: $vgpr84_vgpr85
                                        ; implicit-def: $vgpr88_vgpr89
                                        ; implicit-def: $vgpr96_vgpr97
                                        ; implicit-def: $vgpr80_vgpr81
                                        ; implicit-def: $vgpr32_vgpr33
                                        ; implicit-def: $vgpr28_vgpr29
                                        ; implicit-def: $vgpr24_vgpr25
                                        ; implicit-def: $vgpr16_vgpr17
                                        ; implicit-def: $vgpr12_vgpr13
	s_and_saveexec_b32 s0, vcc_lo
	s_cbranch_execz .LBB0_5
; %bb.4:
	ds_read_b128 v[20:23], v255
	ds_read_b128 v[36:39], v255 offset:1008
	ds_read_b128 v[40:43], v255 offset:2016
	;; [unrolled: 1-line block ×16, first 2 shown]
.LBB0_5:
	s_or_b32 exec_lo, exec_lo, s0
	s_waitcnt lgkmcnt(0)
	v_add_f64 v[100:101], v[38:39], -v[14:15]
	v_add_f64 v[102:103], v[36:37], -v[12:13]
	s_mov_b32 s6, 0x5d8e7cdc
	s_mov_b32 s7, 0xbfd71e95
	v_add_f64 v[106:107], v[42:43], -v[18:19]
	v_add_f64 v[104:105], v[40:41], -v[16:17]
	s_mov_b32 s26, 0x2a9d6da3
	s_mov_b32 s27, 0xbfe58eea
	;; [unrolled: 4-line block ×3, first 2 shown]
	v_add_f64 v[148:149], v[36:37], v[12:13]
	v_add_f64 v[152:153], v[38:39], v[14:15]
	s_mov_b32 s0, 0x370991
	s_mov_b32 s1, 0x3fedd6d0
	v_add_f64 v[108:109], v[40:41], v[16:17]
	v_add_f64 v[110:111], v[42:43], v[18:19]
	s_mov_b32 s8, 0x75d4884
	s_mov_b32 s9, 0x3fe7a5f6
	v_add_f64 v[120:121], v[46:47], v[26:27]
	s_mov_b32 s10, 0x2b2883cd
	v_mul_f64 v[0:1], v[100:101], s[6:7]
	v_mul_f64 v[2:3], v[102:103], s[6:7]
	s_mov_b32 s11, 0x3fdc86fa
	v_add_f64 v[222:223], v[50:51], -v[30:31]
	v_mul_f64 v[4:5], v[106:107], s[26:27]
	v_mul_f64 v[6:7], v[104:105], s[26:27]
	v_add_f64 v[224:225], v[48:49], -v[28:29]
	s_mov_b32 s28, 0xeb564b22
	v_mul_f64 v[8:9], v[218:219], s[36:37]
	v_mul_f64 v[10:11], v[220:221], s[36:37]
	s_mov_b32 s29, 0xbfefdd0d
	v_add_f64 v[128:129], v[50:51], v[30:31]
	s_mov_b32 s16, 0x3259b75e
	s_mov_b32 s17, 0x3fb79ee6
	v_add_f64 v[226:227], v[54:55], -v[34:35]
	s_mov_b32 s2, 0x923c349f
	s_mov_b32 s3, 0xbfeec746
	v_add_f64 v[114:115], v[44:45], v[24:25]
	v_add_f64 v[126:127], v[48:49], v[28:29]
	;; [unrolled: 1-line block ×3, first 2 shown]
	s_mov_b32 s18, 0xc61f0d01
	s_mov_b32 s19, 0xbfd183b1
	buffer_store_dword v0, off, s[60:63], 0 offset:192 ; 4-byte Folded Spill
	buffer_store_dword v1, off, s[60:63], 0 offset:196 ; 4-byte Folded Spill
	;; [unrolled: 1-line block ×12, first 2 shown]
	v_mul_f64 v[60:61], v[222:223], s[28:29]
	buffer_store_dword v60, off, s[60:63], 0 offset:96 ; 4-byte Folded Spill
	buffer_store_dword v61, off, s[60:63], 0 offset:100 ; 4-byte Folded Spill
	v_add_f64 v[228:229], v[52:53], -v[32:33]
	v_add_f64 v[146:147], v[54:55], v[34:35]
	v_add_f64 v[230:231], v[58:59], -v[82:83]
	s_mov_b32 s30, 0x6c9a05f6
	s_mov_b32 s31, 0xbfe9895b
	v_add_f64 v[138:139], v[56:57], v[80:81]
	s_mov_b32 s24, 0x6ed5f1bb
	s_mov_b32 s25, 0xbfe348c8
	v_add_f64 v[232:233], v[56:57], -v[80:81]
	v_add_f64 v[142:143], v[58:59], v[82:83]
	v_add_f64 v[234:235], v[78:79], -v[98:99]
	s_mov_b32 s34, 0x4363dd80
	s_mov_b32 s35, 0xbfe0d888
	v_add_f64 v[166:167], v[76:77], v[96:97]
	s_mov_b32 s20, 0x910ea3b9
	s_mov_b32 s21, 0xbfeb34fa
	;; [unrolled: 8-line block ×3, first 2 shown]
	v_add_f64 v[240:241], v[84:85], -v[88:89]
	v_add_f64 v[162:163], v[86:87], v[90:91]
	s_mov_b32 s49, 0x3fe0d888
	s_mov_b32 s48, s34
	;; [unrolled: 1-line block ×10, first 2 shown]
	v_mul_f64 v[168:169], v[100:101], s[28:29]
	v_mul_f64 v[176:177], v[102:103], s[28:29]
	s_mov_b32 s51, 0x3fe9895b
	s_mov_b32 s50, s30
	v_mul_f64 v[190:191], v[100:101], s[2:3]
	v_mul_f64 v[196:197], v[102:103], s[2:3]
	;; [unrolled: 1-line block ×27, first 2 shown]
	v_fma_f64 v[72:73], v[110:111], s[18:19], -v[188:189]
	v_fma_f64 v[246:247], v[110:111], s[10:11], v[244:245]
	v_fma_f64 v[0:1], v[148:149], s[0:1], v[0:1]
	v_fma_f64 v[2:3], v[152:153], s[0:1], -v[2:3]
	v_fma_f64 v[4:5], v[108:109], s[8:9], v[4:5]
	v_fma_f64 v[6:7], v[110:111], s[8:9], -v[6:7]
	v_fma_f64 v[8:9], v[114:115], s[10:11], v[8:9]
	v_add_f64 v[0:1], v[20:21], v[0:1]
	v_add_f64 v[2:3], v[22:23], v[2:3]
	;; [unrolled: 1-line block ×3, first 2 shown]
	v_fma_f64 v[4:5], v[120:121], s[10:11], -v[10:11]
	v_add_f64 v[2:3], v[6:7], v[2:3]
	v_fma_f64 v[6:7], v[126:127], s[16:17], v[60:61]
	v_add_f64 v[0:1], v[8:9], v[0:1]
	v_add_f64 v[2:3], v[4:5], v[2:3]
	v_mul_f64 v[4:5], v[224:225], s[28:29]
	buffer_store_dword v4, off, s[60:63], 0 offset:128 ; 4-byte Folded Spill
	buffer_store_dword v5, off, s[60:63], 0 offset:132 ; 4-byte Folded Spill
	v_add_f64 v[0:1], v[6:7], v[0:1]
	v_fma_f64 v[4:5], v[128:129], s[16:17], -v[4:5]
	v_add_f64 v[2:3], v[4:5], v[2:3]
	v_mul_f64 v[4:5], v[226:227], s[2:3]
	buffer_store_dword v4, off, s[60:63], 0 offset:112 ; 4-byte Folded Spill
	buffer_store_dword v5, off, s[60:63], 0 offset:116 ; 4-byte Folded Spill
	v_fma_f64 v[4:5], v[132:133], s[18:19], v[4:5]
	v_add_f64 v[0:1], v[4:5], v[0:1]
	v_mul_f64 v[4:5], v[228:229], s[2:3]
	buffer_store_dword v4, off, s[60:63], 0 offset:176 ; 4-byte Folded Spill
	buffer_store_dword v5, off, s[60:63], 0 offset:180 ; 4-byte Folded Spill
	v_fma_f64 v[4:5], v[146:147], s[18:19], -v[4:5]
	v_add_f64 v[2:3], v[4:5], v[2:3]
	v_mul_f64 v[4:5], v[230:231], s[30:31]
	buffer_store_dword v4, off, s[60:63], 0 offset:144 ; 4-byte Folded Spill
	buffer_store_dword v5, off, s[60:63], 0 offset:148 ; 4-byte Folded Spill
	v_fma_f64 v[4:5], v[138:139], s[24:25], v[4:5]
	v_add_f64 v[0:1], v[4:5], v[0:1]
	v_mul_f64 v[4:5], v[232:233], s[30:31]
	buffer_store_dword v4, off, s[60:63], 0 offset:160 ; 4-byte Folded Spill
	buffer_store_dword v5, off, s[60:63], 0 offset:164 ; 4-byte Folded Spill
	;; [unrolled: 10-line block ×4, first 2 shown]
	v_fma_f64 v[4:5], v[162:163], s[22:23], -v[4:5]
	v_add_f64 v[2:3], v[4:5], v[2:3]
	buffer_store_dword v0, off, s[60:63], 0 offset:12 ; 4-byte Folded Spill
	buffer_store_dword v1, off, s[60:63], 0 offset:16 ; 4-byte Folded Spill
	;; [unrolled: 1-line block ×4, first 2 shown]
	v_mul_f64 v[0:1], v[100:101], s[26:27]
	v_mul_f64 v[2:3], v[238:239], s[42:43]
	buffer_store_dword v0, off, s[60:63], 0 offset:520 ; 4-byte Folded Spill
	buffer_store_dword v1, off, s[60:63], 0 offset:524 ; 4-byte Folded Spill
	v_fma_f64 v[4:5], v[148:149], s[8:9], v[0:1]
	v_mul_f64 v[0:1], v[106:107], s[28:29]
	buffer_store_dword v0, off, s[60:63], 0 offset:272 ; 4-byte Folded Spill
	buffer_store_dword v1, off, s[60:63], 0 offset:276 ; 4-byte Folded Spill
	v_add_f64 v[4:5], v[20:21], v[4:5]
	v_fma_f64 v[6:7], v[108:109], s[16:17], v[0:1]
	v_mul_f64 v[0:1], v[102:103], s[26:27]
	buffer_store_dword v0, off, s[60:63], 0 offset:536 ; 4-byte Folded Spill
	buffer_store_dword v1, off, s[60:63], 0 offset:540 ; 4-byte Folded Spill
	v_add_f64 v[4:5], v[6:7], v[4:5]
	v_fma_f64 v[6:7], v[152:153], s[8:9], -v[0:1]
	v_mul_f64 v[0:1], v[104:105], s[28:29]
	buffer_store_dword v0, off, s[60:63], 0 offset:320 ; 4-byte Folded Spill
	buffer_store_dword v1, off, s[60:63], 0 offset:324 ; 4-byte Folded Spill
	v_add_f64 v[6:7], v[22:23], v[6:7]
	v_fma_f64 v[8:9], v[110:111], s[16:17], -v[0:1]
	v_mul_f64 v[0:1], v[218:219], s[30:31]
	buffer_store_dword v0, off, s[60:63], 0 offset:312 ; 4-byte Folded Spill
	buffer_store_dword v1, off, s[60:63], 0 offset:316 ; 4-byte Folded Spill
	v_add_f64 v[6:7], v[8:9], v[6:7]
	v_fma_f64 v[8:9], v[114:115], s[24:25], v[0:1]
	v_mul_f64 v[0:1], v[220:221], s[30:31]
	buffer_store_dword v0, off, s[60:63], 0 offset:336 ; 4-byte Folded Spill
	buffer_store_dword v1, off, s[60:63], 0 offset:340 ; 4-byte Folded Spill
	v_add_f64 v[4:5], v[8:9], v[4:5]
	v_fma_f64 v[8:9], v[120:121], s[24:25], -v[0:1]
	v_mul_f64 v[0:1], v[222:223], s[38:39]
	buffer_store_dword v0, off, s[60:63], 0 offset:328 ; 4-byte Folded Spill
	buffer_store_dword v1, off, s[60:63], 0 offset:332 ; 4-byte Folded Spill
	v_add_f64 v[6:7], v[8:9], v[6:7]
	v_fma_f64 v[8:9], v[126:127], s[22:23], v[0:1]
	;; [unrolled: 10-line block ×6, first 2 shown]
	v_add_f64 v[4:5], v[8:9], v[4:5]
	v_fma_f64 v[8:9], v[162:163], s[0:1], -v[0:1]
	v_mul_f64 v[0:1], v[100:101], s[36:37]
	buffer_store_dword v0, off, s[60:63], 0 offset:600 ; 4-byte Folded Spill
	buffer_store_dword v1, off, s[60:63], 0 offset:604 ; 4-byte Folded Spill
	v_add_f64 v[6:7], v[8:9], v[6:7]
	v_fma_f64 v[8:9], v[148:149], s[10:11], v[0:1]
	v_mul_f64 v[0:1], v[106:107], s[30:31]
	buffer_store_dword v0, off, s[60:63], 0 offset:408 ; 4-byte Folded Spill
	buffer_store_dword v1, off, s[60:63], 0 offset:412 ; 4-byte Folded Spill
	v_add_f64 v[8:9], v[20:21], v[8:9]
	v_fma_f64 v[10:11], v[108:109], s[24:25], v[0:1]
	v_mul_f64 v[0:1], v[102:103], s[36:37]
	buffer_store_dword v0, off, s[60:63], 0 offset:608 ; 4-byte Folded Spill
	buffer_store_dword v1, off, s[60:63], 0 offset:612 ; 4-byte Folded Spill
	v_add_f64 v[8:9], v[10:11], v[8:9]
	v_fma_f64 v[10:11], v[152:153], s[10:11], -v[0:1]
	v_mul_f64 v[0:1], v[104:105], s[30:31]
	buffer_store_dword v0, off, s[60:63], 0 offset:424 ; 4-byte Folded Spill
	buffer_store_dword v1, off, s[60:63], 0 offset:428 ; 4-byte Folded Spill
	v_add_f64 v[10:11], v[22:23], v[10:11]
	v_fma_f64 v[60:61], v[110:111], s[24:25], -v[0:1]
	v_mul_f64 v[0:1], v[218:219], s[44:45]
	buffer_store_dword v0, off, s[60:63], 0 offset:416 ; 4-byte Folded Spill
	buffer_store_dword v1, off, s[60:63], 0 offset:420 ; 4-byte Folded Spill
	v_add_f64 v[10:11], v[60:61], v[10:11]
	v_fma_f64 v[60:61], v[114:115], s[22:23], v[0:1]
	v_mul_f64 v[0:1], v[220:221], s[44:45]
	buffer_store_dword v0, off, s[60:63], 0 offset:448 ; 4-byte Folded Spill
	buffer_store_dword v1, off, s[60:63], 0 offset:452 ; 4-byte Folded Spill
	v_add_f64 v[8:9], v[60:61], v[8:9]
	s_mov_b32 s45, 0x3fe58eea
	s_mov_b32 s44, s26
	v_mul_f64 v[150:151], v[220:221], s[44:45]
	v_fma_f64 v[60:61], v[120:121], s[22:23], -v[0:1]
	v_mul_f64 v[0:1], v[222:223], s[46:47]
	buffer_store_dword v0, off, s[60:63], 0 offset:440 ; 4-byte Folded Spill
	buffer_store_dword v1, off, s[60:63], 0 offset:444 ; 4-byte Folded Spill
	v_add_f64 v[10:11], v[60:61], v[10:11]
	v_fma_f64 v[60:61], v[126:127], s[18:19], v[0:1]
	v_mul_f64 v[0:1], v[224:225], s[46:47]
	buffer_store_dword v0, off, s[60:63], 0 offset:464 ; 4-byte Folded Spill
	buffer_store_dword v1, off, s[60:63], 0 offset:468 ; 4-byte Folded Spill
	v_add_f64 v[8:9], v[60:61], v[8:9]
	v_fma_f64 v[60:61], v[128:129], s[18:19], -v[0:1]
	v_mul_f64 v[0:1], v[226:227], s[44:45]
	buffer_store_dword v0, off, s[60:63], 0 offset:456 ; 4-byte Folded Spill
	buffer_store_dword v1, off, s[60:63], 0 offset:460 ; 4-byte Folded Spill
	v_add_f64 v[10:11], v[60:61], v[10:11]
	v_fma_f64 v[60:61], v[132:133], s[8:9], v[0:1]
	v_mul_f64 v[0:1], v[228:229], s[44:45]
	buffer_store_dword v0, off, s[60:63], 0 offset:496 ; 4-byte Folded Spill
	buffer_store_dword v1, off, s[60:63], 0 offset:500 ; 4-byte Folded Spill
	v_add_f64 v[8:9], v[60:61], v[8:9]
	;; [unrolled: 10-line block ×5, first 2 shown]
	v_fma_f64 v[60:61], v[162:163], s[20:21], -v[0:1]
	v_mul_f64 v[0:1], v[106:107], s[38:39]
	buffer_store_dword v0, off, s[60:63], 0 offset:528 ; 4-byte Folded Spill
	buffer_store_dword v1, off, s[60:63], 0 offset:532 ; 4-byte Folded Spill
	v_add_f64 v[10:11], v[60:61], v[10:11]
	v_fma_f64 v[60:61], v[148:149], s[16:17], v[168:169]
	v_add_f64 v[60:61], v[20:21], v[60:61]
	v_fma_f64 v[62:63], v[108:109], s[22:23], v[0:1]
	v_mul_f64 v[0:1], v[104:105], s[38:39]
	buffer_store_dword v0, off, s[60:63], 0 offset:552 ; 4-byte Folded Spill
	buffer_store_dword v1, off, s[60:63], 0 offset:556 ; 4-byte Folded Spill
	v_add_f64 v[60:61], v[62:63], v[60:61]
	v_fma_f64 v[62:63], v[152:153], s[16:17], -v[176:177]
	v_add_f64 v[62:63], v[22:23], v[62:63]
	v_fma_f64 v[64:65], v[110:111], s[22:23], -v[0:1]
	v_mul_f64 v[0:1], v[218:219], s[46:47]
	buffer_store_dword v0, off, s[60:63], 0 offset:544 ; 4-byte Folded Spill
	buffer_store_dword v1, off, s[60:63], 0 offset:548 ; 4-byte Folded Spill
	v_add_f64 v[62:63], v[64:65], v[62:63]
	v_fma_f64 v[64:65], v[114:115], s[18:19], v[0:1]
	v_mul_f64 v[0:1], v[220:221], s[46:47]
	buffer_store_dword v0, off, s[60:63], 0 offset:568 ; 4-byte Folded Spill
	buffer_store_dword v1, off, s[60:63], 0 offset:572 ; 4-byte Folded Spill
	v_add_f64 v[60:61], v[64:65], v[60:61]
	v_fma_f64 v[64:65], v[120:121], s[18:19], -v[0:1]
	v_mul_f64 v[0:1], v[222:223], s[42:43]
	buffer_store_dword v0, off, s[60:63], 0 offset:560 ; 4-byte Folded Spill
	buffer_store_dword v1, off, s[60:63], 0 offset:564 ; 4-byte Folded Spill
	v_add_f64 v[62:63], v[64:65], v[62:63]
	v_fma_f64 v[64:65], v[126:127], s[0:1], v[0:1]
	v_mul_f64 v[0:1], v[224:225], s[42:43]
	buffer_store_dword v0, off, s[60:63], 0 offset:584 ; 4-byte Folded Spill
	buffer_store_dword v1, off, s[60:63], 0 offset:588 ; 4-byte Folded Spill
	;; [unrolled: 10-line block ×6, first 2 shown]
	v_add_f64 v[64:65], v[64:65], v[60:61]
	v_fma_f64 v[60:61], v[162:163], s[8:9], -v[0:1]
	v_mul_f64 v[0:1], v[106:107], s[48:49]
	buffer_store_dword v0, off, s[60:63], 0 offset:616 ; 4-byte Folded Spill
	buffer_store_dword v1, off, s[60:63], 0 offset:620 ; 4-byte Folded Spill
	v_add_f64 v[66:67], v[60:61], v[62:63]
	v_fma_f64 v[60:61], v[148:149], s[18:19], v[190:191]
	v_mul_f64 v[106:107], v[106:107], s[42:43]
	v_add_f64 v[60:61], v[20:21], v[60:61]
	v_fma_f64 v[62:63], v[108:109], s[20:21], v[0:1]
	v_mul_f64 v[0:1], v[104:105], s[48:49]
	buffer_store_dword v0, off, s[60:63], 0 offset:640 ; 4-byte Folded Spill
	buffer_store_dword v1, off, s[60:63], 0 offset:644 ; 4-byte Folded Spill
	v_add_f64 v[60:61], v[62:63], v[60:61]
	v_fma_f64 v[62:63], v[152:153], s[18:19], -v[196:197]
	v_mul_f64 v[104:105], v[104:105], s[42:43]
	v_add_f64 v[62:63], v[22:23], v[62:63]
	v_fma_f64 v[68:69], v[110:111], s[20:21], -v[0:1]
	v_mul_f64 v[0:1], v[218:219], s[44:45]
	buffer_store_dword v0, off, s[60:63], 0 offset:624 ; 4-byte Folded Spill
	buffer_store_dword v1, off, s[60:63], 0 offset:628 ; 4-byte Folded Spill
	v_add_f64 v[62:63], v[68:69], v[62:63]
	v_fma_f64 v[68:69], v[114:115], s[8:9], v[0:1]
	v_mul_f64 v[0:1], v[222:223], s[36:37]
	buffer_store_dword v0, off, s[60:63], 0 offset:632 ; 4-byte Folded Spill
	buffer_store_dword v1, off, s[60:63], 0 offset:636 ; 4-byte Folded Spill
	v_add_f64 v[60:61], v[68:69], v[60:61]
	v_fma_f64 v[68:69], v[120:121], s[8:9], -v[150:151]
	s_mov_b32 s37, 0x3fefdd0d
	s_mov_b32 s36, s28
	v_mul_f64 v[156:157], v[230:231], s[36:37]
	v_mul_f64 v[174:175], v[232:233], s[36:37]
	;; [unrolled: 1-line block ×4, first 2 shown]
	v_add_f64 v[62:63], v[68:69], v[62:63]
	v_fma_f64 v[68:69], v[126:127], s[10:11], v[0:1]
	v_add_f64 v[60:61], v[68:69], v[60:61]
	v_fma_f64 v[68:69], v[128:129], s[10:11], -v[154:155]
	v_add_f64 v[62:63], v[68:69], v[62:63]
	v_fma_f64 v[68:69], v[132:133], s[22:23], v[144:145]
	v_add_f64 v[60:61], v[68:69], v[60:61]
	v_fma_f64 v[68:69], v[146:147], s[22:23], -v[160:161]
	;; [unrolled: 4-line block ×5, first 2 shown]
	v_add_f64 v[70:71], v[60:61], v[62:63]
	v_fma_f64 v[60:61], v[148:149], s[24:25], v[214:215]
	v_fma_f64 v[62:63], v[108:109], s[18:19], v[182:183]
	v_add_f64 v[60:61], v[20:21], v[60:61]
	v_add_f64 v[60:61], v[62:63], v[60:61]
	v_fma_f64 v[62:63], v[152:153], s[24:25], -v[216:217]
	v_add_f64 v[62:63], v[22:23], v[62:63]
	v_add_f64 v[62:63], v[72:73], v[62:63]
	v_fma_f64 v[72:73], v[114:115], s[0:1], v[184:185]
	v_add_f64 v[60:61], v[72:73], v[60:61]
	v_fma_f64 v[72:73], v[120:121], s[0:1], -v[194:195]
	v_add_f64 v[62:63], v[72:73], v[62:63]
	v_fma_f64 v[72:73], v[126:127], s[20:21], v[186:187]
	v_add_f64 v[60:61], v[72:73], v[60:61]
	v_fma_f64 v[72:73], v[128:129], s[20:21], -v[200:201]
	;; [unrolled: 4-line block ×6, first 2 shown]
	v_add_f64 v[74:75], v[60:61], v[62:63]
	v_fma_f64 v[60:61], v[148:149], s[20:21], -v[92:93]
	v_fma_f64 v[62:63], v[108:109], s[10:11], -v[94:95]
	v_fma_f64 v[92:93], v[148:149], s[20:21], v[92:93]
	v_fma_f64 v[94:95], v[108:109], s[10:11], v[94:95]
	v_add_f64 v[60:61], v[20:21], v[60:61]
	v_add_f64 v[92:93], v[20:21], v[92:93]
	;; [unrolled: 1-line block ×3, first 2 shown]
	v_fma_f64 v[62:63], v[152:153], s[20:21], v[242:243]
	v_add_f64 v[92:93], v[94:95], v[92:93]
	v_fma_f64 v[94:95], v[152:153], s[20:21], -v[242:243]
	v_add_f64 v[62:63], v[22:23], v[62:63]
	v_add_f64 v[94:95], v[22:23], v[94:95]
	;; [unrolled: 1-line block ×3, first 2 shown]
	v_mul_f64 v[246:247], v[218:219], s[28:29]
	v_fma_f64 v[248:249], v[114:115], s[16:17], -v[246:247]
	v_add_f64 v[60:61], v[248:249], v[60:61]
	v_mul_f64 v[248:249], v[220:221], s[28:29]
	v_fma_f64 v[250:251], v[120:121], s[16:17], v[248:249]
	v_add_f64 v[62:63], v[250:251], v[62:63]
	v_mul_f64 v[250:251], v[222:223], s[50:51]
	v_fma_f64 v[252:253], v[126:127], s[24:25], -v[250:251]
	v_add_f64 v[60:61], v[252:253], v[60:61]
	v_mul_f64 v[252:253], v[224:225], s[50:51]
	v_fma_f64 v[112:113], v[128:129], s[24:25], v[252:253]
	v_add_f64 v[62:63], v[112:113], v[62:63]
	v_mul_f64 v[112:113], v[226:227], s[6:7]
	v_fma_f64 v[116:117], v[132:133], s[0:1], -v[112:113]
	v_fma_f64 v[112:113], v[132:133], s[0:1], v[112:113]
	v_add_f64 v[60:61], v[116:117], v[60:61]
	v_mul_f64 v[116:117], v[228:229], s[6:7]
	v_fma_f64 v[118:119], v[146:147], s[0:1], v[116:117]
	v_add_f64 v[62:63], v[118:119], v[62:63]
	v_mul_f64 v[118:119], v[230:231], s[38:39]
	v_fma_f64 v[122:123], v[138:139], s[22:23], -v[118:119]
	v_add_f64 v[60:61], v[122:123], v[60:61]
	v_mul_f64 v[122:123], v[232:233], s[38:39]
	v_fma_f64 v[124:125], v[142:143], s[22:23], v[122:123]
	v_add_f64 v[62:63], v[124:125], v[62:63]
	v_mul_f64 v[124:125], v[234:235], s[44:45]
	v_fma_f64 v[130:131], v[166:167], s[8:9], -v[124:125]
	;; [unrolled: 6-line block ×3, first 2 shown]
	v_add_f64 v[60:61], v[136:137], v[60:61]
	v_mul_f64 v[136:137], v[240:241], s[2:3]
	v_fma_f64 v[140:141], v[162:163], s[18:19], v[136:137]
	v_add_f64 v[62:63], v[140:141], v[62:63]
	v_fma_f64 v[140:141], v[110:111], s[10:11], -v[244:245]
	v_add_f64 v[94:95], v[140:141], v[94:95]
	v_fma_f64 v[140:141], v[114:115], s[16:17], v[246:247]
	v_add_f64 v[92:93], v[140:141], v[92:93]
	v_fma_f64 v[140:141], v[120:121], s[16:17], -v[248:249]
	v_add_f64 v[94:95], v[140:141], v[94:95]
	;; [unrolled: 4-line block ×3, first 2 shown]
	v_add_f64 v[94:95], v[140:141], v[94:95]
	v_fma_f64 v[112:113], v[146:147], s[0:1], -v[116:117]
	v_fma_f64 v[116:117], v[162:163], s[18:19], -v[136:137]
	v_add_f64 v[94:95], v[112:113], v[94:95]
	v_fma_f64 v[112:113], v[138:139], s[22:23], v[118:119]
	v_fma_f64 v[118:119], v[110:111], s[0:1], v[104:105]
	v_fma_f64 v[104:105], v[110:111], s[0:1], -v[104:105]
	v_add_f64 v[92:93], v[112:113], v[92:93]
	v_fma_f64 v[112:113], v[142:143], s[22:23], -v[122:123]
	v_add_f64 v[94:95], v[112:113], v[94:95]
	v_fma_f64 v[112:113], v[166:167], s[8:9], v[124:125]
	v_add_f64 v[92:93], v[112:113], v[92:93]
	v_fma_f64 v[112:113], v[170:171], s[8:9], -v[130:131]
	v_add_f64 v[94:95], v[112:113], v[94:95]
	v_fma_f64 v[112:113], v[158:159], s[18:19], v[134:135]
	v_add_f64 v[94:95], v[116:117], v[94:95]
	v_add_f64 v[92:93], v[112:113], v[92:93]
	v_mul_f64 v[112:113], v[100:101], s[38:39]
	v_fma_f64 v[116:117], v[108:109], s[0:1], -v[106:107]
	v_fma_f64 v[106:107], v[108:109], s[0:1], v[106:107]
	v_fma_f64 v[100:101], v[148:149], s[22:23], -v[112:113]
	v_fma_f64 v[112:113], v[148:149], s[22:23], v[112:113]
	v_add_f64 v[100:101], v[20:21], v[100:101]
	v_add_f64 v[112:113], v[20:21], v[112:113]
	;; [unrolled: 1-line block ×3, first 2 shown]
	v_mul_f64 v[116:117], v[102:103], s[38:39]
	v_add_f64 v[106:107], v[106:107], v[112:113]
	v_fma_f64 v[102:103], v[152:153], s[22:23], v[116:117]
	v_fma_f64 v[112:113], v[152:153], s[22:23], -v[116:117]
	v_add_f64 v[102:103], v[22:23], v[102:103]
	v_add_f64 v[112:113], v[22:23], v[112:113]
	;; [unrolled: 1-line block ×3, first 2 shown]
	v_mul_f64 v[118:119], v[218:219], s[34:35]
	v_add_f64 v[104:105], v[104:105], v[112:113]
	v_fma_f64 v[122:123], v[114:115], s[20:21], -v[118:119]
	v_fma_f64 v[112:113], v[114:115], s[20:21], v[118:119]
	v_add_f64 v[100:101], v[122:123], v[100:101]
	v_mul_f64 v[122:123], v[220:221], s[34:35]
	v_add_f64 v[106:107], v[112:113], v[106:107]
	v_fma_f64 v[124:125], v[120:121], s[20:21], v[122:123]
	v_fma_f64 v[112:113], v[120:121], s[20:21], -v[122:123]
	v_add_f64 v[102:103], v[124:125], v[102:103]
	v_mul_f64 v[124:125], v[222:223], s[44:45]
	v_add_f64 v[104:105], v[112:113], v[104:105]
	v_fma_f64 v[130:131], v[126:127], s[8:9], -v[124:125]
	v_fma_f64 v[112:113], v[126:127], s[8:9], v[124:125]
	v_add_f64 v[100:101], v[130:131], v[100:101]
	v_mul_f64 v[130:131], v[224:225], s[44:45]
	v_add_f64 v[106:107], v[112:113], v[106:107]
	v_fma_f64 v[134:135], v[128:129], s[8:9], v[130:131]
	v_fma_f64 v[112:113], v[128:129], s[8:9], -v[130:131]
	v_add_f64 v[102:103], v[134:135], v[102:103]
	v_mul_f64 v[134:135], v[226:227], s[30:31]
	v_add_f64 v[104:105], v[112:113], v[104:105]
	v_mul_f64 v[226:227], v[240:241], s[36:37]
	v_fma_f64 v[136:137], v[132:133], s[24:25], -v[134:135]
	v_fma_f64 v[112:113], v[132:133], s[24:25], v[134:135]
	v_fma_f64 v[116:117], v[162:163], s[16:17], -v[226:227]
	v_add_f64 v[100:101], v[136:137], v[100:101]
	v_mul_f64 v[136:137], v[228:229], s[30:31]
	v_add_f64 v[106:107], v[112:113], v[106:107]
	v_fma_f64 v[140:141], v[146:147], s[24:25], v[136:137]
	v_fma_f64 v[112:113], v[146:147], s[24:25], -v[136:137]
	v_add_f64 v[102:103], v[140:141], v[102:103]
	v_mul_f64 v[140:141], v[230:231], s[40:41]
	v_add_f64 v[104:105], v[112:113], v[104:105]
	v_fma_f64 v[218:219], v[138:139], s[10:11], -v[140:141]
	v_fma_f64 v[112:113], v[138:139], s[10:11], v[140:141]
	v_add_f64 v[100:101], v[218:219], v[100:101]
	v_mul_f64 v[218:219], v[232:233], s[40:41]
	v_add_f64 v[106:107], v[112:113], v[106:107]
	v_fma_f64 v[220:221], v[142:143], s[10:11], v[218:219]
	v_fma_f64 v[112:113], v[142:143], s[10:11], -v[218:219]
	v_add_f64 v[102:103], v[220:221], v[102:103]
	v_mul_f64 v[220:221], v[234:235], s[2:3]
	v_add_f64 v[104:105], v[112:113], v[104:105]
	v_fma_f64 v[222:223], v[166:167], s[18:19], -v[220:221]
	v_fma_f64 v[112:113], v[166:167], s[18:19], v[220:221]
	v_add_f64 v[100:101], v[222:223], v[100:101]
	v_mul_f64 v[222:223], v[236:237], s[2:3]
	s_clause 0x1
	s_load_dwordx2 s[6:7], s[4:5], 0x20
	s_load_dwordx2 s[2:3], s[4:5], 0x8
	s_waitcnt lgkmcnt(0)
	s_waitcnt_vscnt null, 0x0
	s_barrier
	buffer_gl0_inv
	buffer_load_dword v0, off, s[60:63], 0  ; 4-byte Folded Reload
	v_add_f64 v[106:107], v[112:113], v[106:107]
	v_fma_f64 v[224:225], v[170:171], s[18:19], v[222:223]
	v_fma_f64 v[112:113], v[170:171], s[18:19], -v[222:223]
	v_add_f64 v[102:103], v[224:225], v[102:103]
	v_mul_f64 v[224:225], v[238:239], s[36:37]
	v_add_f64 v[112:113], v[112:113], v[104:105]
	v_fma_f64 v[228:229], v[158:159], s[16:17], -v[224:225]
	v_fma_f64 v[104:105], v[158:159], s[16:17], v[224:225]
	v_add_f64 v[100:101], v[228:229], v[100:101]
	v_fma_f64 v[228:229], v[162:163], s[16:17], v[226:227]
	v_add_f64 v[104:105], v[104:105], v[106:107]
	v_add_f64 v[106:107], v[116:117], v[112:113]
	;; [unrolled: 1-line block ×3, first 2 shown]
	s_waitcnt vmcnt(0)
	v_mul_lo_u16 v0, v0, 17
	buffer_store_dword v0, off, s[60:63], 0 offset:28 ; 4-byte Folded Spill
	s_and_saveexec_b32 s4, vcc_lo
	s_cbranch_execz .LBB0_7
; %bb.6:
	s_clause 0x1
	buffer_load_dword v0, off, s[60:63], 0 offset:608
	buffer_load_dword v1, off, s[60:63], 0 offset:612
	v_add_f64 v[36:37], v[20:21], v[36:37]
	v_add_f64 v[38:39], v[22:23], v[38:39]
	v_mul_f64 v[124:125], v[110:111], s[20:21]
	v_mul_f64 v[140:141], v[132:133], s[22:23]
	v_mul_f64 v[122:123], v[120:121], s[8:9]
	v_mul_f64 v[118:119], v[128:129], s[10:11]
	v_mul_f64 v[136:137], v[138:139], s[16:17]
	v_mul_f64 v[116:117], v[146:147], s[22:23]
	v_mul_f64 v[134:135], v[166:167], s[0:1]
	v_mul_f64 v[130:131], v[158:159], s[24:25]
	v_mul_f64 v[112:113], v[142:143], s[16:17]
	v_mul_f64 v[218:219], v[138:139], s[18:19]
	v_mul_f64 v[220:221], v[170:171], s[24:25]
	v_mul_f64 v[222:223], v[166:167], s[24:25]
	v_mul_f64 v[224:225], v[170:171], s[16:17]
	v_mul_f64 v[226:227], v[166:167], s[16:17]
	v_mul_f64 v[228:229], v[170:171], s[10:11]
	v_mul_f64 v[230:231], v[166:167], s[10:11]
	v_mul_f64 v[232:233], v[162:163], s[8:9]
	v_add_f64 v[36:37], v[36:37], v[40:41]
	v_add_f64 v[38:39], v[38:39], v[42:43]
	v_mul_f64 v[42:43], v[148:149], s[16:17]
	v_add_f64 v[140:141], v[140:141], -v[144:145]
	v_mul_f64 v[144:145], v[126:127], s[10:11]
	v_add_f64 v[122:123], v[150:151], v[122:123]
	v_mul_f64 v[150:151], v[108:109], s[20:21]
	v_mul_f64 v[40:41], v[152:153], s[16:17]
	v_add_f64 v[118:119], v[154:155], v[118:119]
	v_mul_f64 v[154:155], v[128:129], s[0:1]
	v_add_f64 v[136:137], v[136:137], -v[156:157]
	v_mul_f64 v[156:157], v[120:121], s[18:19]
	v_add_f64 v[116:117], v[160:161], v[116:117]
	v_mul_f64 v[160:161], v[110:111], s[22:23]
	v_add_f64 v[134:135], v[134:135], -v[164:165]
	v_mul_f64 v[164:165], v[132:133], s[10:11]
	v_add_f64 v[130:131], v[130:131], -v[172:173]
	v_mul_f64 v[172:173], v[114:115], s[18:19]
	v_add_f64 v[112:113], v[174:175], v[112:113]
	v_mul_f64 v[174:175], v[108:109], s[22:23]
	v_add_f64 v[36:37], v[36:37], v[44:45]
	v_mul_f64 v[44:45], v[152:153], s[10:11]
	v_add_f64 v[38:39], v[38:39], v[46:47]
	v_mul_f64 v[46:47], v[148:149], s[10:11]
	v_add_f64 v[42:43], v[42:43], -v[168:169]
	v_mul_f64 v[168:169], v[126:127], s[0:1]
	v_add_f64 v[40:41], v[176:177], v[40:41]
	v_mul_f64 v[176:177], v[146:147], s[8:9]
	v_add_f64 v[36:37], v[36:37], v[48:49]
	;; [unrolled: 2-line block ×4, first 2 shown]
	v_add_f64 v[40:41], v[22:23], v[40:41]
	v_add_f64 v[36:37], v[36:37], v[52:53]
	v_mul_f64 v[52:53], v[152:153], s[0:1]
	v_add_f64 v[38:39], v[38:39], v[54:55]
	v_mul_f64 v[54:55], v[148:149], s[0:1]
	;; [unrolled: 2-line block ×5, first 2 shown]
	v_add_f64 v[38:39], v[38:39], v[78:79]
	v_add_f64 v[58:59], v[194:195], v[58:59]
	v_mul_f64 v[194:195], v[128:129], s[22:23]
	v_add_f64 v[56:57], v[200:201], v[56:57]
	v_mul_f64 v[200:201], v[132:133], s[20:21]
	v_mul_f64 v[78:79], v[158:159], s[10:11]
	v_add_f64 v[36:37], v[36:37], v[84:85]
	v_add_f64 v[76:77], v[188:189], v[76:77]
	;; [unrolled: 1-line block ×3, first 2 shown]
	v_mul_f64 v[86:87], v[126:127], s[20:21]
	v_mul_f64 v[188:189], v[114:115], s[22:23]
	;; [unrolled: 1-line block ×3, first 2 shown]
	v_add_f64 v[78:79], v[78:79], -v[206:207]
	v_mul_f64 v[206:207], v[108:109], s[16:17]
	v_add_f64 v[36:37], v[36:37], v[88:89]
	v_mul_f64 v[88:89], v[114:115], s[0:1]
	v_add_f64 v[38:39], v[38:39], v[90:91]
	v_mul_f64 v[90:91], v[108:109], s[18:19]
	v_add_f64 v[86:87], v[86:87], -v[186:187]
	v_mul_f64 v[186:187], v[126:127], s[18:19]
	v_add_f64 v[84:85], v[84:85], -v[192:193]
	v_mul_f64 v[192:193], v[146:147], s[20:21]
	v_add_f64 v[36:37], v[36:37], v[96:97]
	v_mul_f64 v[96:97], v[162:163], s[24:25]
	v_add_f64 v[38:39], v[38:39], v[98:99]
	v_mul_f64 v[98:99], v[170:171], s[0:1]
	v_add_f64 v[90:91], v[90:91], -v[182:183]
	v_mul_f64 v[182:183], v[110:111], s[24:25]
	v_add_f64 v[88:89], v[88:89], -v[184:185]
	v_mul_f64 v[184:185], v[132:133], s[8:9]
	v_mul_f64 v[132:133], v[132:133], s[18:19]
	v_add_f64 v[36:37], v[36:37], v[80:81]
	v_add_f64 v[96:97], v[180:181], v[96:97]
	;; [unrolled: 1-line block ×4, first 2 shown]
	v_mul_f64 v[178:179], v[128:129], s[18:19]
	v_mul_f64 v[180:181], v[120:121], s[22:23]
	;; [unrolled: 1-line block ×6, first 2 shown]
	v_add_f64 v[32:33], v[36:37], v[32:33]
	v_mul_f64 v[36:37], v[152:153], s[18:19]
	v_add_f64 v[34:35], v[38:39], v[34:35]
	v_mul_f64 v[38:39], v[148:149], s[18:19]
	v_add_f64 v[82:83], v[82:83], -v[198:199]
	v_mul_f64 v[198:199], v[110:111], s[16:17]
	v_add_f64 v[80:81], v[80:81], -v[202:203]
	v_mul_f64 v[202:203], v[126:127], s[22:23]
	v_mul_f64 v[110:111], v[110:111], s[8:9]
	;; [unrolled: 1-line block ×3, first 2 shown]
	v_add_f64 v[28:29], v[32:33], v[28:29]
	v_mul_f64 v[32:33], v[152:153], s[24:25]
	v_add_f64 v[30:31], v[34:35], v[30:31]
	v_mul_f64 v[34:35], v[148:149], s[24:25]
	v_mul_f64 v[148:149], v[114:115], s[8:9]
	;; [unrolled: 1-line block ×3, first 2 shown]
	v_add_f64 v[38:39], v[38:39], -v[190:191]
	v_mul_f64 v[190:191], v[108:109], s[24:25]
	v_add_f64 v[36:37], v[196:197], v[36:37]
	v_mul_f64 v[196:197], v[120:121], s[24:25]
	v_mul_f64 v[120:121], v[120:121], s[10:11]
	;; [unrolled: 1-line block ×3, first 2 shown]
	v_add_f64 v[24:25], v[28:29], v[24:25]
	v_add_f64 v[32:33], v[216:217], v[32:33]
	;; [unrolled: 1-line block ×3, first 2 shown]
	v_add_f64 v[34:35], v[34:35], -v[214:215]
	v_mul_f64 v[30:31], v[170:171], s[22:23]
	v_mul_f64 v[28:29], v[162:163], s[10:11]
	v_add_f64 v[38:39], v[20:21], v[38:39]
	v_mul_f64 v[214:215], v[138:139], s[0:1]
	v_add_f64 v[36:37], v[22:23], v[36:37]
	v_mul_f64 v[216:217], v[142:143], s[18:19]
	v_mul_f64 v[170:171], v[170:171], s[20:21]
	v_add_f64 v[32:33], v[22:23], v[32:33]
	v_add_f64 v[34:35], v[20:21], v[34:35]
	;; [unrolled: 1-line block ×3, first 2 shown]
	v_mul_f64 v[210:211], v[138:139], s[20:21]
	v_add_f64 v[28:29], v[212:213], v[28:29]
	v_mul_f64 v[212:213], v[142:143], s[0:1]
	v_mul_f64 v[138:139], v[138:139], s[24:25]
	s_waitcnt vmcnt(0)
	v_add_f64 v[44:45], v[0:1], v[44:45]
	s_clause 0x1
	buffer_load_dword v0, off, s[60:63], 0 offset:600
	buffer_load_dword v1, off, s[60:63], 0 offset:604
	v_add_f64 v[32:33], v[76:77], v[32:33]
	v_mul_f64 v[76:77], v[158:159], s[8:9]
	v_add_f64 v[34:35], v[90:91], v[34:35]
	v_add_f64 v[44:45], v[22:23], v[44:45]
	v_add_f64 v[32:33], v[58:59], v[32:33]
	v_mul_f64 v[58:59], v[162:163], s[20:21]
	v_add_f64 v[34:35], v[88:89], v[34:35]
	v_add_f64 v[88:89], v[24:25], v[16:17]
	;; [unrolled: 4-line block ×3, first 2 shown]
	v_add_f64 v[12:13], v[88:89], v[12:13]
	v_add_f64 v[34:35], v[84:85], v[34:35]
	v_mul_f64 v[84:85], v[158:159], s[22:23]
	v_add_f64 v[14:15], v[86:87], v[14:15]
	v_add_f64 v[34:35], v[82:83], v[34:35]
	v_mul_f64 v[82:83], v[162:163], s[22:23]
	s_waitcnt vmcnt(0)
	v_add_f64 v[46:47], v[46:47], -v[0:1]
	s_clause 0x1
	buffer_load_dword v0, off, s[60:63], 0 offset:536
	buffer_load_dword v1, off, s[60:63], 0 offset:540
	v_add_f64 v[46:47], v[20:21], v[46:47]
	s_waitcnt vmcnt(0)
	v_add_f64 v[48:49], v[0:1], v[48:49]
	s_clause 0x1
	buffer_load_dword v0, off, s[60:63], 0 offset:520
	buffer_load_dword v1, off, s[60:63], 0 offset:524
	v_add_f64 v[48:49], v[22:23], v[48:49]
	s_waitcnt vmcnt(0)
	v_add_f64 v[50:51], v[50:51], -v[0:1]
	s_clause 0x1
	buffer_load_dword v0, off, s[60:63], 0 offset:208
	buffer_load_dword v1, off, s[60:63], 0 offset:212
	v_add_f64 v[50:51], v[20:21], v[50:51]
	s_waitcnt vmcnt(0)
	v_add_f64 v[52:53], v[0:1], v[52:53]
	s_clause 0x1
	buffer_load_dword v0, off, s[60:63], 0 offset:192
	buffer_load_dword v1, off, s[60:63], 0 offset:196
	v_add_f64 v[22:23], v[22:23], v[52:53]
	v_mul_f64 v[52:53], v[142:143], s[8:9]
	v_add_f64 v[52:53], v[208:209], v[52:53]
	v_mul_f64 v[208:209], v[142:143], s[20:21]
	v_mul_f64 v[142:143], v[142:143], s[24:25]
	s_waitcnt vmcnt(0)
	v_add_f64 v[54:55], v[54:55], -v[0:1]
	s_clause 0x1
	buffer_load_dword v0, off, s[60:63], 0 offset:640
	buffer_load_dword v1, off, s[60:63], 0 offset:644
	v_add_f64 v[20:21], v[20:21], v[54:55]
	v_mul_f64 v[54:55], v[146:147], s[16:17]
	v_mul_f64 v[146:147], v[146:147], s[18:19]
	v_add_f64 v[54:55], v[204:205], v[54:55]
	v_mul_f64 v[204:205], v[114:115], s[24:25]
	v_mul_f64 v[114:115], v[114:115], s[10:11]
	v_add_f64 v[32:33], v[54:55], v[32:33]
	v_mul_f64 v[54:55], v[162:163], s[0:1]
	v_add_f64 v[32:33], v[52:53], v[32:33]
	;; [unrolled: 2-line block ×3, first 2 shown]
	v_add_f64 v[32:33], v[80:81], v[34:35]
	v_add_f64 v[52:53], v[52:53], -v[2:3]
	v_add_f64 v[18:19], v[28:29], v[30:31]
	v_add_f64 v[16:17], v[78:79], v[32:33]
	s_waitcnt vmcnt(0)
	v_add_f64 v[124:125], v[0:1], v[124:125]
	s_clause 0x1
	buffer_load_dword v0, off, s[60:63], 0 offset:632
	buffer_load_dword v1, off, s[60:63], 0 offset:636
	v_add_f64 v[36:37], v[124:125], v[36:37]
	v_add_f64 v[36:37], v[122:123], v[36:37]
	v_add_f64 v[36:37], v[118:119], v[36:37]
	v_add_f64 v[36:37], v[116:117], v[36:37]
	v_add_f64 v[36:37], v[112:113], v[36:37]
	v_add_f64 v[34:35], v[98:99], v[36:37]
	s_waitcnt vmcnt(0)
	v_add_f64 v[144:145], v[144:145], -v[0:1]
	s_clause 0x1
	buffer_load_dword v0, off, s[60:63], 0 offset:624
	buffer_load_dword v1, off, s[60:63], 0 offset:628
	s_waitcnt vmcnt(0)
	v_add_f64 v[148:149], v[148:149], -v[0:1]
	s_clause 0x1
	buffer_load_dword v0, off, s[60:63], 0 offset:616
	buffer_load_dword v1, off, s[60:63], 0 offset:620
	;; [unrolled: 5-line block ×3, first 2 shown]
	v_add_f64 v[38:39], v[150:151], v[38:39]
	v_add_f64 v[38:39], v[148:149], v[38:39]
	;; [unrolled: 1-line block ×6, first 2 shown]
	s_waitcnt vmcnt(0)
	v_add_f64 v[152:153], v[0:1], v[152:153]
	s_clause 0x1
	buffer_load_dword v0, off, s[60:63], 0 offset:584
	buffer_load_dword v1, off, s[60:63], 0 offset:588
	s_waitcnt vmcnt(0)
	v_add_f64 v[154:155], v[0:1], v[154:155]
	s_clause 0x1
	buffer_load_dword v0, off, s[60:63], 0 offset:568
	buffer_load_dword v1, off, s[60:63], 0 offset:572
	s_waitcnt vmcnt(0)
	v_add_f64 v[156:157], v[0:1], v[156:157]
	s_clause 0x1
	buffer_load_dword v0, off, s[60:63], 0 offset:552
	buffer_load_dword v1, off, s[60:63], 0 offset:556
	s_waitcnt vmcnt(0)
	v_add_f64 v[160:161], v[0:1], v[160:161]
	s_clause 0x1
	buffer_load_dword v0, off, s[60:63], 0 offset:576
	buffer_load_dword v1, off, s[60:63], 0 offset:580
	v_add_f64 v[40:41], v[160:161], v[40:41]
	v_add_f64 v[40:41], v[156:157], v[40:41]
	v_add_f64 v[40:41], v[154:155], v[40:41]
	v_add_f64 v[40:41], v[152:153], v[40:41]
	s_waitcnt vmcnt(0)
	v_add_f64 v[164:165], v[164:165], -v[0:1]
	s_clause 0x1
	buffer_load_dword v0, off, s[60:63], 0 offset:560
	buffer_load_dword v1, off, s[60:63], 0 offset:564
	s_waitcnt vmcnt(0)
	v_add_f64 v[168:169], v[168:169], -v[0:1]
	s_clause 0x1
	buffer_load_dword v0, off, s[60:63], 0 offset:544
	buffer_load_dword v1, off, s[60:63], 0 offset:548
	s_waitcnt vmcnt(0)
	v_add_f64 v[172:173], v[172:173], -v[0:1]
	s_clause 0x1
	buffer_load_dword v0, off, s[60:63], 0 offset:528
	buffer_load_dword v1, off, s[60:63], 0 offset:532
	s_waitcnt vmcnt(0)
	v_add_f64 v[174:175], v[174:175], -v[0:1]
	s_clause 0x1
	buffer_load_dword v0, off, s[60:63], 0 offset:496
	buffer_load_dword v1, off, s[60:63], 0 offset:500
	v_add_f64 v[42:43], v[174:175], v[42:43]
	v_add_f64 v[42:43], v[172:173], v[42:43]
	v_add_f64 v[42:43], v[168:169], v[42:43]
	v_add_f64 v[42:43], v[164:165], v[42:43]
	s_waitcnt vmcnt(0)
	v_add_f64 v[176:177], v[0:1], v[176:177]
	s_clause 0x1
	buffer_load_dword v0, off, s[60:63], 0 offset:464
	buffer_load_dword v1, off, s[60:63], 0 offset:468
	s_waitcnt vmcnt(0)
	v_add_f64 v[178:179], v[0:1], v[178:179]
	s_clause 0x1
	buffer_load_dword v0, off, s[60:63], 0 offset:448
	buffer_load_dword v1, off, s[60:63], 0 offset:452
	s_waitcnt vmcnt(0)
	v_add_f64 v[180:181], v[0:1], v[180:181]
	s_clause 0x1
	buffer_load_dword v0, off, s[60:63], 0 offset:424
	buffer_load_dword v1, off, s[60:63], 0 offset:428
	s_waitcnt vmcnt(0)
	v_add_f64 v[182:183], v[0:1], v[182:183]
	s_clause 0x1
	buffer_load_dword v0, off, s[60:63], 0 offset:456
	buffer_load_dword v1, off, s[60:63], 0 offset:460
	v_add_f64 v[44:45], v[182:183], v[44:45]
	v_add_f64 v[44:45], v[180:181], v[44:45]
	v_add_f64 v[44:45], v[178:179], v[44:45]
	v_add_f64 v[44:45], v[176:177], v[44:45]
	s_waitcnt vmcnt(0)
	v_add_f64 v[184:185], v[184:185], -v[0:1]
	s_clause 0x1
	buffer_load_dword v0, off, s[60:63], 0 offset:440
	buffer_load_dword v1, off, s[60:63], 0 offset:444
	s_waitcnt vmcnt(0)
	v_add_f64 v[186:187], v[186:187], -v[0:1]
	s_clause 0x1
	buffer_load_dword v0, off, s[60:63], 0 offset:416
	buffer_load_dword v1, off, s[60:63], 0 offset:420
	s_waitcnt vmcnt(0)
	v_add_f64 v[188:189], v[188:189], -v[0:1]
	s_clause 0x1
	buffer_load_dword v0, off, s[60:63], 0 offset:408
	buffer_load_dword v1, off, s[60:63], 0 offset:412
	s_waitcnt vmcnt(0)
	v_add_f64 v[190:191], v[190:191], -v[0:1]
	s_clause 0x1
	buffer_load_dword v0, off, s[60:63], 0 offset:368
	buffer_load_dword v1, off, s[60:63], 0 offset:372
	v_add_f64 v[46:47], v[190:191], v[46:47]
	v_add_f64 v[46:47], v[188:189], v[46:47]
	v_add_f64 v[46:47], v[186:187], v[46:47]
	v_add_f64 v[46:47], v[184:185], v[46:47]
	;; [unrolled: 48-line block ×3, first 2 shown]
	s_waitcnt vmcnt(0)
	v_add_f64 v[128:129], v[0:1], v[128:129]
	s_clause 0x1
	buffer_load_dword v0, off, s[60:63], 0 offset:80
	buffer_load_dword v1, off, s[60:63], 0 offset:84
	s_waitcnt vmcnt(0)
	v_add_f64 v[120:121], v[0:1], v[120:121]
	s_clause 0x1
	buffer_load_dword v0, off, s[60:63], 0 offset:48
	buffer_load_dword v1, off, s[60:63], 0 offset:52
	;; [unrolled: 5-line block ×3, first 2 shown]
	v_add_f64 v[22:23], v[110:111], v[22:23]
	v_add_f64 v[22:23], v[120:121], v[22:23]
	;; [unrolled: 1-line block ×3, first 2 shown]
	s_waitcnt vmcnt(0)
	v_add_f64 v[126:127], v[126:127], -v[0:1]
	s_clause 0x1
	buffer_load_dword v0, off, s[60:63], 0 offset:32
	buffer_load_dword v1, off, s[60:63], 0 offset:36
	s_waitcnt vmcnt(0)
	v_add_f64 v[108:109], v[108:109], -v[0:1]
	s_clause 0x1
	buffer_load_dword v0, off, s[60:63], 0 offset:64
	buffer_load_dword v1, off, s[60:63], 0 offset:68
	v_add_f64 v[20:21], v[108:109], v[20:21]
	s_waitcnt vmcnt(0)
	v_add_f64 v[114:115], v[114:115], -v[0:1]
	s_clause 0x1
	buffer_load_dword v0, off, s[60:63], 0 offset:176
	buffer_load_dword v1, off, s[60:63], 0 offset:180
	v_add_f64 v[20:21], v[114:115], v[20:21]
	v_add_f64 v[20:21], v[126:127], v[20:21]
	s_waitcnt vmcnt(0)
	v_add_f64 v[146:147], v[0:1], v[146:147]
	s_clause 0x1
	buffer_load_dword v0, off, s[60:63], 0 offset:112
	buffer_load_dword v1, off, s[60:63], 0 offset:116
	v_add_f64 v[22:23], v[146:147], v[22:23]
	s_waitcnt vmcnt(0)
	v_add_f64 v[132:133], v[132:133], -v[0:1]
	s_clause 0x1
	buffer_load_dword v0, off, s[60:63], 0 offset:512
	buffer_load_dword v1, off, s[60:63], 0 offset:516
	v_add_f64 v[20:21], v[132:133], v[20:21]
	s_waitcnt vmcnt(0)
	v_add_f64 v[208:209], v[0:1], v[208:209]
	s_clause 0x1
	buffer_load_dword v0, off, s[60:63], 0 offset:504
	buffer_load_dword v1, off, s[60:63], 0 offset:508
	v_add_f64 v[40:41], v[208:209], v[40:41]
	s_waitcnt vmcnt(0)
	v_add_f64 v[210:211], v[210:211], -v[0:1]
	s_clause 0x1
	buffer_load_dword v0, off, s[60:63], 0 offset:400
	buffer_load_dword v1, off, s[60:63], 0 offset:404
	;; [unrolled: 12-line block ×8, first 2 shown]
	v_add_f64 v[50:51], v[230:231], v[50:51]
	v_add_f64 v[32:33], v[52:53], v[50:51]
	s_waitcnt vmcnt(0)
	v_add_f64 v[170:171], v[0:1], v[170:171]
	s_clause 0x1
	buffer_load_dword v0, off, s[60:63], 0 offset:240
	buffer_load_dword v1, off, s[60:63], 0 offset:244
	v_add_f64 v[48:49], v[170:171], v[22:23]
	v_add_f64 v[22:23], v[96:97], v[34:35]
	s_waitcnt vmcnt(0)
	v_add_f64 v[166:167], v[166:167], -v[0:1]
	s_clause 0x1
	buffer_load_dword v0, off, s[60:63], 0 offset:472
	buffer_load_dword v1, off, s[60:63], 0 offset:476
	v_add_f64 v[20:21], v[166:167], v[20:21]
	s_waitcnt vmcnt(0)
	v_add_f64 v[232:233], v[0:1], v[232:233]
	s_clause 0x1
	buffer_load_dword v0, off, s[60:63], 0 offset:432
	buffer_load_dword v1, off, s[60:63], 0 offset:436
	v_add_f64 v[26:27], v[232:233], v[36:37]
	s_waitcnt vmcnt(0)
	v_add_f64 v[76:77], v[76:77], -v[0:1]
	s_clause 0x1
	buffer_load_dword v0, off, s[60:63], 0 offset:344
	buffer_load_dword v1, off, s[60:63], 0 offset:348
	v_add_f64 v[24:25], v[76:77], v[42:43]
	s_waitcnt vmcnt(0)
	v_add_f64 v[58:59], v[0:1], v[58:59]
	s_clause 0x1
	buffer_load_dword v0, off, s[60:63], 0 offset:304
	buffer_load_dword v1, off, s[60:63], 0 offset:308
	;; [unrolled: 12-line block ×3, first 2 shown]
	v_add_f64 v[34:35], v[54:55], v[44:45]
	s_waitcnt vmcnt(0)
	v_add_f64 v[82:83], v[0:1], v[82:83]
	s_clause 0x1
	buffer_load_dword v0, off, s[60:63], 0 offset:224
	buffer_load_dword v1, off, s[60:63], 0 offset:228
	v_add_f64 v[38:39], v[82:83], v[48:49]
	s_waitcnt vmcnt(0)
	v_add_f64 v[84:85], v[84:85], -v[0:1]
	buffer_load_dword v1, off, s[60:63], 0 offset:28 ; 4-byte Folded Reload
	v_mov_b32_e32 v0, 4
	v_add_f64 v[36:37], v[84:85], v[20:21]
	v_add_f64 v[20:21], v[130:131], v[80:81]
	s_waitcnt vmcnt(0)
	v_lshlrev_b32_sdwa v0, v0, v1 dst_sel:DWORD dst_unused:UNUSED_PAD src0_sel:DWORD src1_sel:WORD_0
	ds_write_b128 v0, v[60:63] offset:112
	ds_write_b128 v0, v[100:103] offset:128
	;; [unrolled: 1-line block ×15, first 2 shown]
	ds_write_b128 v0, v[12:15]
	s_clause 0x3
	buffer_load_dword v12, off, s[60:63], 0 offset:12
	buffer_load_dword v13, off, s[60:63], 0 offset:16
	;; [unrolled: 1-line block ×4, first 2 shown]
	s_waitcnt vmcnt(0)
	ds_write_b128 v0, v[12:15] offset:256
.LBB0_7:
	s_or_b32 exec_lo, exec_lo, s4
	s_waitcnt lgkmcnt(0)
	s_waitcnt_vscnt null, 0x0
	s_barrier
	buffer_gl0_inv
	ds_read_b128 v[76:79], v255
	ds_read_b128 v[108:111], v255 offset:2448
	ds_read_b128 v[96:99], v255 offset:4896
	;; [unrolled: 1-line block ×6, first 2 shown]
	buffer_load_dword v0, off, s[60:63], 0  ; 4-byte Folded Reload
	s_waitcnt vmcnt(0)
	v_cmp_gt_u16_e64 s0, 34, v0
	s_and_saveexec_b32 s1, s0
	s_cbranch_execz .LBB0_9
; %bb.8:
	ds_read_b128 v[60:63], v255 offset:1904
	ds_read_b128 v[100:103], v255 offset:4352
	;; [unrolled: 1-line block ×7, first 2 shown]
.LBB0_9:
	s_or_b32 exec_lo, exec_lo, s1
	buffer_load_dword v12, off, s[60:63], 0 ; 4-byte Folded Reload
	s_mov_b32 s18, 0x37e14327
	s_mov_b32 s4, 0x36b3c0b5
	s_mov_b32 s24, 0xe976ee23
	s_mov_b32 s8, 0x429ad128
	s_mov_b32 s19, 0x3fe948f6
	s_mov_b32 s5, 0x3fac98ee
	s_mov_b32 s25, 0xbfe11646
	s_mov_b32 s9, 0x3febfeb5
	s_mov_b32 s10, 0xaaaaaaaa
	s_mov_b32 s20, 0x5476071b
	s_mov_b32 s22, 0xb247c609
	s_mov_b32 s11, 0xbff2aaaa
	s_mov_b32 s21, 0x3fe77f67
	s_mov_b32 s27, 0xbfe77f67
	s_mov_b32 s23, 0x3fd5d0dc
	s_mov_b32 s29, 0xbfd5d0dc
	s_mov_b32 s26, s20
	s_mov_b32 s28, s22
	s_mov_b32 s16, 0x37c3f68c
	s_mov_b32 s17, 0x3fdc38aa
	s_waitcnt vmcnt(0)
	v_and_b32_e32 v0, 0xff, v12
	v_add_nc_u16 v1, v12, 0x77
	v_mul_lo_u16 v0, 0xf1, v0
	v_and_b32_e32 v2, 0xff, v1
	v_lshrrev_b16 v0, 12, v0
	v_mul_lo_u16 v2, 0xf1, v2
	v_mul_lo_u16 v3, v0, 17
	v_lshrrev_b16 v52, 12, v2
	v_sub_nc_u16 v3, v12, v3
	v_and_b32_e32 v2, 0xff, v3
	v_mul_lo_u16 v3, v52, 17
	v_mul_u32_u24_e32 v12, 6, v2
	v_sub_nc_u16 v1, v1, v3
	v_lshlrev_b32_e32 v3, 4, v12
	v_and_b32_e32 v53, 0xff, v1
	s_clause 0x1
	global_load_dwordx4 v[48:51], v3, s[2:3]
	global_load_dwordx4 v[44:47], v3, s[2:3] offset:16
	v_mul_u32_u24_e32 v1, 6, v53
	s_clause 0x1
	global_load_dwordx4 v[36:39], v3, s[2:3] offset:32
	global_load_dwordx4 v[32:35], v3, s[2:3] offset:80
	v_lshlrev_b32_e32 v1, 4, v1
	s_clause 0x7
	global_load_dwordx4 v[164:167], v3, s[2:3] offset:64
	global_load_dwordx4 v[40:43], v3, s[2:3] offset:48
	global_load_dwordx4 v[16:19], v1, s[2:3]
	global_load_dwordx4 v[12:15], v1, s[2:3] offset:16
	global_load_dwordx4 v[54:57], v1, s[2:3] offset:32
	;; [unrolled: 1-line block ×5, first 2 shown]
	s_waitcnt vmcnt(11) lgkmcnt(5)
	v_mul_f64 v[116:117], v[110:111], v[50:51]
	v_mul_f64 v[118:119], v[108:109], v[50:51]
	s_waitcnt vmcnt(10) lgkmcnt(4)
	v_mul_f64 v[120:121], v[98:99], v[46:47]
	s_waitcnt vmcnt(8) lgkmcnt(0)
	v_mul_f64 v[128:129], v[114:115], v[34:35]
	s_waitcnt vmcnt(7)
	v_mul_f64 v[132:133], v[90:91], v[166:167]
	s_waitcnt vmcnt(5)
	;; [unrolled: 2-line block ×3, first 2 shown]
	v_mul_f64 v[144:145], v[106:107], v[14:15]
	v_mul_f64 v[130:131], v[112:113], v[34:35]
	s_waitcnt vmcnt(2)
	v_mul_f64 v[152:153], v[66:67], v[26:27]
	v_mul_f64 v[134:135], v[88:89], v[166:167]
	s_waitcnt vmcnt(0)
	v_mul_f64 v[160:161], v[70:71], v[30:31]
	v_mul_f64 v[142:143], v[100:101], v[18:19]
	;; [unrolled: 1-line block ×14, first 2 shown]
	v_fma_f64 v[108:109], v[108:109], v[48:49], -v[116:117]
	v_fma_f64 v[112:113], v[112:113], v[32:33], -v[128:129]
	buffer_store_dword v32, off, s[60:63], 0 offset:32 ; 4-byte Folded Spill
	buffer_store_dword v33, off, s[60:63], 0 offset:36 ; 4-byte Folded Spill
	buffer_store_dword v34, off, s[60:63], 0 offset:40 ; 4-byte Folded Spill
	buffer_store_dword v35, off, s[60:63], 0 offset:44 ; 4-byte Folded Spill
	v_fma_f64 v[88:89], v[88:89], v[164:165], -v[132:133]
	buffer_store_dword v164, off, s[60:63], 0 offset:48 ; 4-byte Folded Spill
	buffer_store_dword v165, off, s[60:63], 0 offset:52 ; 4-byte Folded Spill
	buffer_store_dword v166, off, s[60:63], 0 offset:56 ; 4-byte Folded Spill
	buffer_store_dword v167, off, s[60:63], 0 offset:60 ; 4-byte Folded Spill
	;; [unrolled: 5-line block ×7, first 2 shown]
	v_fma_f64 v[110:111], v[110:111], v[48:49], v[118:119]
	v_fma_f64 v[96:97], v[96:97], v[44:45], -v[120:121]
	v_fma_f64 v[98:99], v[98:99], v[44:45], v[122:123]
	v_fma_f64 v[84:85], v[84:85], v[36:37], -v[124:125]
	v_fma_f64 v[86:87], v[86:87], v[36:37], v[126:127]
	v_fma_f64 v[80:81], v[80:81], v[40:41], -v[136:137]
	v_fma_f64 v[82:83], v[82:83], v[40:41], v[138:139]
	v_fma_f64 v[92:93], v[92:93], v[54:55], -v[148:149]
	v_fma_f64 v[94:95], v[94:95], v[54:55], v[150:151]
	v_add_f64 v[116:117], v[108:109], v[112:113]
	v_add_f64 v[108:109], v[108:109], -v[112:113]
	v_add_f64 v[120:121], v[96:97], v[88:89]
	v_add_f64 v[88:89], v[96:97], -v[88:89]
	;; [unrolled: 2-line block ×7, first 2 shown]
	v_add_f64 v[116:117], v[116:117], -v[112:113]
	v_add_f64 v[120:121], v[112:113], -v[120:121]
	v_add_f64 v[132:133], v[96:97], v[84:85]
	v_add_f64 v[124:125], v[80:81], v[88:89]
	v_add_f64 v[128:129], v[80:81], -v[88:89]
	v_add_f64 v[88:89], v[88:89], -v[108:109]
	;; [unrolled: 1-line block ×5, first 2 shown]
	v_add_f64 v[140:141], v[72:73], v[68:69]
	v_add_f64 v[144:145], v[72:73], -v[68:69]
	v_add_f64 v[68:69], v[68:69], -v[64:65]
	;; [unrolled: 1-line block ×3, first 2 shown]
	v_add_f64 v[92:93], v[112:113], v[92:93]
	v_add_f64 v[112:113], v[64:65], -v[72:73]
	v_mov_b32_e32 v72, 0x77
	v_mul_f64 v[116:117], v[116:117], s[18:19]
	v_add_f64 v[100:101], v[100:101], v[132:133]
	v_add_f64 v[108:109], v[124:125], v[108:109]
	v_mul_f64 v[124:125], v[120:121], s[4:5]
	v_mul_f64 v[128:129], v[128:129], s[24:25]
	;; [unrolled: 1-line block ×4, first 2 shown]
	v_mul_u32_u24_sdwa v0, v0, v72 dst_sel:DWORD dst_unused:UNUSED_PAD src0_sel:WORD_0 src1_sel:DWORD
	v_add_f64 v[64:65], v[140:141], v[64:65]
	v_add_lshl_u32 v176, v0, v2, 4
	v_fma_f64 v[120:121], v[120:121], s[4:5], v[116:117]
	v_add_f64 v[60:61], v[60:61], v[100:101]
	v_fma_f64 v[124:125], v[104:105], s[20:21], -v[124:125]
	v_fma_f64 v[104:105], v[104:105], s[26:27], -v[116:117]
	v_fma_f64 v[116:117], v[80:81], s[22:23], v[128:129]
	v_fma_f64 v[88:89], v[88:89], s[8:9], -v[128:129]
	v_fma_f64 v[100:101], v[100:101], s[10:11], v[60:61]
	v_fma_f64 v[114:115], v[114:115], v[32:33], v[130:131]
	;; [unrolled: 1-line block ×8, first 2 shown]
	v_add_f64 v[118:119], v[110:111], v[114:115]
	v_add_f64 v[110:111], v[110:111], -v[114:115]
	v_add_f64 v[122:123], v[98:99], v[90:91]
	v_add_f64 v[114:115], v[86:87], v[82:83]
	v_add_f64 v[90:91], v[98:99], -v[90:91]
	v_add_f64 v[82:83], v[82:83], -v[86:87]
	v_add_f64 v[86:87], v[102:103], v[66:67]
	v_add_f64 v[66:67], v[102:103], -v[66:67]
	v_add_f64 v[98:99], v[106:107], v[70:71]
	;; [unrolled: 2-line block ×4, first 2 shown]
	v_add_f64 v[106:107], v[122:123], -v[118:119]
	v_add_f64 v[118:119], v[118:119], -v[114:115]
	v_add_f64 v[122:123], v[114:115], -v[122:123]
	v_add_f64 v[126:127], v[82:83], v[90:91]
	v_add_f64 v[130:131], v[82:83], -v[90:91]
	v_add_f64 v[90:91], v[90:91], -v[110:111]
	v_add_f64 v[82:83], v[110:111], -v[82:83]
	v_add_f64 v[134:135], v[98:99], v[86:87]
	;; [unrolled: 4-line block ×3, first 2 shown]
	v_add_f64 v[146:147], v[74:75], -v[70:71]
	v_add_f64 v[70:71], v[70:71], -v[66:67]
	v_add_f64 v[94:95], v[114:115], v[94:95]
	v_add_f64 v[114:115], v[66:67], -v[74:75]
	v_mul_f64 v[118:119], v[118:119], s[18:19]
	v_add_f64 v[73:74], v[76:77], v[92:93]
	v_add_f64 v[110:111], v[126:127], v[110:111]
	v_mul_f64 v[126:127], v[122:123], s[4:5]
	v_mul_f64 v[130:131], v[130:131], s[24:25]
	v_add_f64 v[102:103], v[102:103], v[134:135]
	v_mul_f64 v[134:135], v[90:91], s[8:9]
	v_mul_f64 v[86:87], v[86:87], s[18:19]
	;; [unrolled: 1-line block ×3, first 2 shown]
	v_add_f64 v[66:67], v[142:143], v[66:67]
	v_mul_f64 v[142:143], v[144:145], s[24:25]
	v_mul_f64 v[144:145], v[146:147], s[24:25]
	;; [unrolled: 1-line block ×4, first 2 shown]
	v_add_f64 v[75:76], v[78:79], v[94:95]
	v_mul_f64 v[77:78], v[96:97], s[4:5]
	v_fma_f64 v[122:123], v[122:123], s[4:5], v[118:119]
	v_fma_f64 v[79:80], v[80:81], s[28:29], -v[132:133]
	v_fma_f64 v[92:93], v[92:93], s[10:11], v[73:74]
	v_fma_f64 v[126:127], v[106:107], s[20:21], -v[126:127]
	v_fma_f64 v[106:107], v[106:107], s[26:27], -v[118:119]
	v_fma_f64 v[118:119], v[82:83], s[22:23], v[130:131]
	v_add_f64 v[62:63], v[62:63], v[102:103]
	v_fma_f64 v[90:91], v[90:91], s[8:9], -v[130:131]
	v_fma_f64 v[81:82], v[82:83], s[28:29], -v[134:135]
	v_fma_f64 v[96:97], v[96:97], s[4:5], v[84:85]
	v_fma_f64 v[98:99], v[98:99], s[4:5], v[86:87]
	v_fma_f64 v[128:129], v[138:139], s[20:21], -v[140:141]
	v_fma_f64 v[83:84], v[136:137], s[26:27], -v[84:85]
	;; [unrolled: 1-line block ×7, first 2 shown]
	v_fma_f64 v[112:113], v[112:113], s[22:23], v[142:143]
	v_fma_f64 v[114:115], v[114:115], s[22:23], v[144:145]
	;; [unrolled: 1-line block ×3, first 2 shown]
	v_fma_f64 v[77:78], v[136:137], s[20:21], -v[77:78]
	v_fma_f64 v[134:135], v[108:109], s[16:17], v[116:117]
	v_fma_f64 v[116:117], v[108:109], s[16:17], v[88:89]
	;; [unrolled: 1-line block ×3, first 2 shown]
	v_add_f64 v[120:121], v[120:121], v[92:93]
	v_add_f64 v[104:105], v[104:105], v[92:93]
	v_fma_f64 v[136:137], v[110:111], s[16:17], v[118:119]
	v_fma_f64 v[102:103], v[102:103], s[10:11], v[62:63]
	;; [unrolled: 1-line block ×4, first 2 shown]
	v_add_f64 v[91:92], v[124:125], v[92:93]
	s_load_dwordx4 s[4:7], s[6:7], 0x0
	s_waitcnt lgkmcnt(0)
	s_waitcnt_vscnt null, 0x0
	v_add_f64 v[138:139], v[83:84], v[100:101]
	s_barrier
	v_fma_f64 v[124:125], v[64:65], s[16:17], v[68:69]
	buffer_gl0_inv
	v_fma_f64 v[130:131], v[64:65], s[16:17], v[130:131]
	v_fma_f64 v[132:133], v[66:67], s[16:17], v[132:133]
	;; [unrolled: 1-line block ×4, first 2 shown]
	v_add_f64 v[122:123], v[122:123], v[94:95]
	v_add_f64 v[106:107], v[106:107], v[94:95]
	;; [unrolled: 1-line block ×3, first 2 shown]
	v_fma_f64 v[126:127], v[66:67], s[16:17], v[70:71]
	v_add_f64 v[142:143], v[77:78], v[100:101]
	v_add_f64 v[66:67], v[96:97], v[100:101]
	;; [unrolled: 1-line block ×7, first 2 shown]
	v_add_f64 v[85:86], v[91:92], -v[89:90]
	v_add_f64 v[112:113], v[89:90], v[91:92]
	v_add_f64 v[120:121], v[120:121], -v[136:137]
	v_add_f64 v[96:97], v[138:139], -v[132:133]
	;; [unrolled: 1-line block ×4, first 2 shown]
	v_add_f64 v[87:88], v[116:117], v[93:94]
	v_add_f64 v[114:115], v[93:94], -v[116:117]
	v_add_f64 v[116:117], v[104:105], -v[110:111]
	v_add_f64 v[118:119], v[108:109], v[106:107]
	v_add_f64 v[108:109], v[132:133], v[138:139]
	v_add_f64 v[104:105], v[142:143], -v[126:127]
	v_add_f64 v[110:111], v[140:141], -v[130:131]
	v_add_f64 v[106:107], v[124:125], v[128:129]
	v_add_f64 v[100:101], v[126:127], v[142:143]
	v_add_f64 v[102:103], v[128:129], -v[124:125]
	v_add_f64 v[98:99], v[130:131], v[140:141]
	v_add_f64 v[92:93], v[66:67], -v[64:65]
	v_add_f64 v[94:95], v[68:69], v[70:71]
	v_add_f64 v[122:123], v[134:135], v[122:123]
	ds_write_b128 v176, v[73:76]
	ds_write_b128 v176, v[77:80] offset:272
	ds_write_b128 v176, v[81:84] offset:544
	;; [unrolled: 1-line block ×6, first 2 shown]
	s_mov_b32 s1, exec_lo
	s_clause 0x3
	buffer_load_dword v28, off, s[60:63], 0 offset:12
	buffer_load_dword v29, off, s[60:63], 0 offset:16
	;; [unrolled: 1-line block ×4, first 2 shown]
	s_and_b32 s8, s1, s0
	s_mov_b32 exec_lo, s8
	s_cbranch_execz .LBB0_11
; %bb.10:
	v_add_f64 v[68:69], v[70:71], -v[68:69]
	v_add_f64 v[66:67], v[64:65], v[66:67]
	v_mul_u32_u24_sdwa v0, v52, v72 dst_sel:DWORD dst_unused:UNUSED_PAD src0_sel:WORD_0 src1_sel:DWORD
	v_add_lshl_u32 v0, v0, v53, 4
	ds_write_b128 v0, v[60:63]
	ds_write_b128 v0, v[108:111] offset:544
	ds_write_b128 v0, v[104:107] offset:816
	;; [unrolled: 1-line block ×6, first 2 shown]
.LBB0_11:
	s_or_b32 exec_lo, exec_lo, s1
	buffer_load_dword v0, off, s[60:63], 0  ; 4-byte Folded Reload
	s_waitcnt vmcnt(0) lgkmcnt(0)
	s_barrier
	buffer_gl0_inv
	s_mov_b32 s8, 0x8c811c17
	s_mov_b32 s10, 0xa2cf5039
	;; [unrolled: 1-line block ×6, first 2 shown]
	v_lshlrev_b32_e32 v0, 7, v0
	s_clause 0x7
	global_load_dwordx4 v[72:75], v0, s[2:3] offset:1632
	global_load_dwordx4 v[80:83], v0, s[2:3] offset:1744
	;; [unrolled: 1-line block ×8, first 2 shown]
	ds_read_b128 v[112:115], v255 offset:1904
	ds_read_b128 v[116:119], v255 offset:15232
	;; [unrolled: 1-line block ×8, first 2 shown]
	s_mov_b32 s3, 0x3fe491b7
	s_mov_b32 s2, 0x523c161c
	s_waitcnt vmcnt(7) lgkmcnt(7)
	v_mul_f64 v[144:145], v[114:115], v[74:75]
	v_mul_f64 v[146:147], v[112:113], v[74:75]
	s_waitcnt vmcnt(6) lgkmcnt(6)
	v_mul_f64 v[148:149], v[118:119], v[82:83]
	s_waitcnt vmcnt(4) lgkmcnt(4)
	v_mul_f64 v[156:157], v[126:127], v[14:15]
	v_mul_f64 v[158:159], v[124:125], v[14:15]
	;; [unrolled: 1-line block ×5, first 2 shown]
	s_waitcnt vmcnt(3) lgkmcnt(3)
	v_mul_f64 v[160:161], v[130:131], v[90:91]
	v_mul_f64 v[162:163], v[128:129], v[90:91]
	s_waitcnt vmcnt(2) lgkmcnt(2)
	v_mul_f64 v[164:165], v[134:135], v[86:87]
	v_mul_f64 v[166:167], v[132:133], v[86:87]
	v_fma_f64 v[144:145], v[112:113], v[72:73], -v[144:145]
	v_fma_f64 v[146:147], v[114:115], v[72:73], v[146:147]
	v_fma_f64 v[116:117], v[116:117], v[80:81], -v[148:149]
	v_fma_f64 v[124:125], v[124:125], v[12:13], -v[156:157]
	buffer_store_dword v12, off, s[60:63], 0 offset:64 ; 4-byte Folded Spill
	buffer_store_dword v13, off, s[60:63], 0 offset:68 ; 4-byte Folded Spill
	;; [unrolled: 1-line block ×4, first 2 shown]
	v_fma_f64 v[118:119], v[118:119], v[80:81], v[150:151]
	v_fma_f64 v[120:121], v[120:121], v[76:77], -v[152:153]
	v_fma_f64 v[122:123], v[122:123], v[76:77], v[154:155]
	v_fma_f64 v[128:129], v[128:129], v[88:89], -v[160:161]
	;; [unrolled: 2-line block ×3, first 2 shown]
	v_fma_f64 v[134:135], v[134:135], v[84:85], v[166:167]
	s_waitcnt vmcnt(1) lgkmcnt(1)
	v_mul_f64 v[148:149], v[138:139], v[70:71]
	v_mul_f64 v[150:151], v[136:137], v[70:71]
	s_waitcnt vmcnt(0) lgkmcnt(0)
	v_mul_f64 v[152:153], v[142:143], v[66:67]
	v_mul_f64 v[154:155], v[140:141], v[66:67]
	ds_read_b128 v[112:115], v255
	v_add_f64 v[156:157], v[144:145], -v[116:117]
	v_add_f64 v[116:117], v[144:145], v[116:117]
	v_add_f64 v[144:145], v[120:121], v[124:125]
	v_add_f64 v[160:161], v[120:121], -v[124:125]
	v_add_f64 v[164:165], v[128:129], v[132:133]
	v_add_f64 v[166:167], v[130:131], v[134:135]
	v_add_f64 v[128:129], v[128:129], -v[132:133]
	v_add_f64 v[130:131], v[130:131], -v[134:135]
	v_fma_f64 v[136:137], v[136:137], v[68:69], -v[148:149]
	v_fma_f64 v[138:139], v[138:139], v[68:69], v[150:151]
	v_fma_f64 v[140:141], v[140:141], v[64:65], -v[152:153]
	v_fma_f64 v[142:143], v[142:143], v[64:65], v[154:155]
	v_mul_f64 v[132:133], v[156:157], s[2:3]
	s_waitcnt lgkmcnt(0)
	v_fma_f64 v[148:149], v[116:117], s[10:11], v[112:113]
	v_fma_f64 v[152:153], v[144:145], s[10:11], v[112:113]
	v_mul_f64 v[168:169], v[160:161], s[8:9]
	v_fma_f64 v[172:173], v[164:165], s[10:11], v[112:113]
	v_fma_f64 v[174:175], v[166:167], s[10:11], v[114:115]
	v_add_f64 v[185:186], v[164:165], v[116:117]
	v_add_f64 v[181:182], v[136:137], v[140:141]
	;; [unrolled: 1-line block ×3, first 2 shown]
	v_add_f64 v[136:137], v[136:137], -v[140:141]
	v_add_f64 v[138:139], v[138:139], -v[142:143]
	v_fma_f64 v[132:133], v[128:129], s[8:9], v[132:133]
	v_fma_f64 v[140:141], v[164:165], s[16:17], v[148:149]
	;; [unrolled: 1-line block ×3, first 2 shown]
	v_add_f64 v[193:194], v[144:145], v[185:186]
	v_add_f64 v[189:190], v[112:113], v[181:182]
	;; [unrolled: 1-line block ×4, first 2 shown]
	v_fma_f64 v[140:141], v[181:182], -0.5, v[140:141]
	v_fma_f64 v[148:149], v[181:182], -0.5, v[148:149]
	v_add_f64 v[120:121], v[120:121], v[185:186]
	v_add_f64 v[124:125], v[124:125], v[120:121]
	;; [unrolled: 1-line block ×3, first 2 shown]
	v_fma_f64 v[126:127], v[126:127], v[12:13], v[158:159]
	v_add_f64 v[158:159], v[146:147], -v[118:119]
	v_add_f64 v[118:119], v[146:147], v[118:119]
	v_add_f64 v[146:147], v[122:123], v[126:127]
	v_add_f64 v[162:163], v[122:123], -v[126:127]
	v_mul_f64 v[134:135], v[158:159], s[2:3]
	s_mov_b32 s3, 0xbfe491b7
	v_fma_f64 v[150:151], v[118:119], s[10:11], v[114:115]
	v_mul_f64 v[179:180], v[160:161], s[2:3]
	v_add_f64 v[187:188], v[166:167], v[118:119]
	v_fma_f64 v[152:153], v[128:129], s[2:3], -v[168:169]
	v_fma_f64 v[168:169], v[144:145], s[16:17], v[172:173]
	v_fma_f64 v[154:155], v[146:147], s[10:11], v[114:115]
	v_mul_f64 v[170:171], v[162:163], s[8:9]
	v_mul_f64 v[177:178], v[162:163], s[2:3]
	v_fma_f64 v[134:135], v[130:131], s[8:9], v[134:135]
	v_fma_f64 v[142:143], v[166:167], s[16:17], v[150:151]
	s_mov_b32 s10, 0xe8584cab
	s_mov_b32 s11, 0x3febb67a
	v_add_f64 v[195:196], v[146:147], v[187:188]
	v_add_f64 v[187:188], v[183:184], v[187:188]
	v_fma_f64 v[132:133], v[136:137], s[10:11], v[132:133]
	v_fma_f64 v[152:153], v[136:137], s[10:11], v[152:153]
	v_fma_f64 v[168:169], v[181:182], -0.5, v[168:169]
	v_fma_f64 v[150:151], v[118:119], s[16:17], v[154:155]
	v_fma_f64 v[154:155], v[130:131], s[2:3], -v[170:171]
	v_fma_f64 v[170:171], v[146:147], s[16:17], v[174:175]
	v_fma_f64 v[172:173], v[158:159], s[8:9], v[177:178]
	;; [unrolled: 1-line block ×3, first 2 shown]
	s_mov_b32 s3, 0xbfebb67a
	s_mov_b32 s2, s10
	v_add_f64 v[177:178], v[160:161], v[156:157]
	v_add_f64 v[179:180], v[162:163], v[158:159]
	v_fma_f64 v[134:135], v[138:139], s[10:11], v[134:135]
	v_fma_f64 v[142:143], v[183:184], -0.5, v[142:143]
	s_mov_b32 s8, 0x748a0bf8
	s_mov_b32 s16, 0x42522d1b
	;; [unrolled: 1-line block ×4, first 2 shown]
	v_add_f64 v[122:123], v[122:123], v[187:188]
	v_fma_f64 v[160:161], v[160:161], s[8:9], v[132:133]
	v_fma_f64 v[132:133], v[144:145], s[16:17], v[140:141]
	v_fma_f64 v[144:145], v[164:165], s[16:17], v[148:149]
	v_fma_f64 v[148:149], v[156:157], s[8:9], v[152:153]
	v_fma_f64 v[116:117], v[116:117], s[16:17], v[168:169]
	v_fma_f64 v[150:151], v[183:184], -0.5, v[150:151]
	v_fma_f64 v[154:155], v[138:139], s[10:11], v[154:155]
	v_fma_f64 v[170:171], v[183:184], -0.5, v[170:171]
	v_fma_f64 v[138:139], v[138:139], s[2:3], v[172:173]
	v_fma_f64 v[136:137], v[136:137], s[2:3], v[174:175]
	v_add_f64 v[172:173], v[177:178], -v[128:129]
	v_add_f64 v[174:175], v[179:180], -v[130:131]
	v_fma_f64 v[177:178], v[193:194], -0.5, v[189:190]
	v_fma_f64 v[179:180], v[195:196], -0.5, v[191:192]
	v_fma_f64 v[162:163], v[162:163], s[8:9], v[134:135]
	v_fma_f64 v[134:135], v[146:147], s[16:17], v[142:143]
	v_add_f64 v[122:123], v[126:127], v[122:123]
	v_fma_f64 v[146:147], v[166:167], s[16:17], v[150:151]
	v_fma_f64 v[150:151], v[158:159], s[8:9], v[154:155]
	;; [unrolled: 1-line block ×5, first 2 shown]
	v_mul_f64 v[128:129], v[172:173], s[10:11]
	v_mul_f64 v[130:131], v[174:175], s[10:11]
	v_fma_f64 v[140:141], v[174:175], s[10:11], v[177:178]
	v_fma_f64 v[142:143], v[172:173], s[2:3], v[179:180]
	v_add_f64 v[136:137], v[162:163], v[132:133]
	v_add_f64 v[138:139], v[134:135], -v[160:161]
	v_add_f64 v[114:115], v[114:115], v[122:123]
	v_add_f64 v[132:133], v[150:151], v[116:117]
	v_add_f64 v[134:135], v[118:119], -v[148:149]
	v_add_f64 v[144:145], v[152:153], v[144:145]
	v_add_f64 v[146:147], v[146:147], -v[154:155]
	v_fma_f64 v[120:121], v[130:131], -2.0, v[140:141]
	v_fma_f64 v[122:123], v[128:129], 2.0, v[142:143]
	v_fma_f64 v[116:117], v[162:163], -2.0, v[136:137]
	v_fma_f64 v[118:119], v[160:161], 2.0, v[138:139]
	;; [unrolled: 2-line block ×4, first 2 shown]
	ds_write_b128 v255, v[140:143] offset:5712
	ds_write_b128 v255, v[112:115]
	ds_write_b128 v255, v[136:139] offset:1904
	ds_write_b128 v255, v[132:135] offset:7616
	;; [unrolled: 1-line block ×7, first 2 shown]
	s_waitcnt lgkmcnt(0)
	s_waitcnt_vscnt null, 0x0
	s_barrier
	buffer_gl0_inv
	s_and_saveexec_b32 s2, vcc_lo
	s_cbranch_execz .LBB0_13
; %bb.12:
	v_add_co_u32 v148, s1, s12, v255
	v_add_co_ci_u32_e64 v149, null, s13, 0, s1
	v_add_co_u32 v150, s1, 0x4000, v148
	v_add_co_ci_u32_e64 v151, s1, 0, v149, s1
	v_add_co_u32 v158, s1, 0x42f0, v148
	v_add_co_ci_u32_e64 v159, s1, 0, v149, s1
	global_load_dwordx4 v[150:153], v[150:151], off offset:752
	v_add_co_u32 v162, s1, 0x4800, v148
	s_clause 0x1
	global_load_dwordx4 v[154:157], v[158:159], off offset:1008
	global_load_dwordx4 v[158:161], v[158:159], off offset:2016
	v_add_co_ci_u32_e64 v163, s1, 0, v149, s1
	v_add_co_u32 v170, s1, 0x5000, v148
	v_add_co_ci_u32_e64 v171, s1, 0, v149, s1
	v_add_co_u32 v174, s1, 0x5800, v148
	v_add_co_ci_u32_e64 v175, s1, 0, v149, s1
	s_clause 0x4
	global_load_dwordx4 v[162:165], v[162:163], off offset:1728
	global_load_dwordx4 v[166:169], v[170:171], off offset:688
	;; [unrolled: 1-line block ×5, first 2 shown]
	v_add_co_u32 v174, s1, 0x6000, v148
	v_add_co_ci_u32_e64 v175, s1, 0, v149, s1
	s_clause 0x1
	global_load_dwordx4 v[185:188], v[174:175], off offset:624
	global_load_dwordx4 v[189:192], v[174:175], off offset:1632
	v_add_co_u32 v174, s1, 0x6800, v148
	v_add_co_ci_u32_e64 v175, s1, 0, v149, s1
	v_add_co_u32 v205, s1, 0x7000, v148
	v_add_co_ci_u32_e64 v206, s1, 0, v149, s1
	s_clause 0x1
	global_load_dwordx4 v[193:196], v[174:175], off offset:592
	global_load_dwordx4 v[197:200], v[174:175], off offset:1600
	v_add_co_u32 v174, s1, 0x7800, v148
	v_add_co_ci_u32_e64 v175, s1, 0, v149, s1
	v_add_co_u32 v148, s1, 0x8000, v148
	v_add_co_ci_u32_e64 v149, s1, 0, v149, s1
	s_clause 0x4
	global_load_dwordx4 v[201:204], v[205:206], off offset:560
	global_load_dwordx4 v[205:208], v[205:206], off offset:1568
	;; [unrolled: 1-line block ×5, first 2 shown]
	ds_read_b128 v[221:224], v255
	ds_read_b128 v[225:228], v255 offset:1008
	ds_read_b128 v[229:232], v255 offset:2016
	;; [unrolled: 1-line block ×7, first 2 shown]
	s_waitcnt vmcnt(16) lgkmcnt(7)
	v_mul_f64 v[148:149], v[223:224], v[152:153]
	v_mul_f64 v[152:153], v[221:222], v[152:153]
	s_waitcnt vmcnt(15) lgkmcnt(6)
	v_mul_f64 v[174:175], v[227:228], v[156:157]
	v_mul_f64 v[156:157], v[225:226], v[156:157]
	s_waitcnt vmcnt(14) lgkmcnt(5)
	v_mul_f64 v[253:254], v[231:232], v[160:161]
	v_mul_f64 v[160:161], v[229:230], v[160:161]
	s_waitcnt vmcnt(13) lgkmcnt(4)
	v_mul_f64 v[12:13], v[235:236], v[164:165]
	v_mul_f64 v[14:15], v[233:234], v[164:165]
	s_waitcnt vmcnt(12) lgkmcnt(3)
	v_mul_f64 v[164:165], v[239:240], v[168:169]
	v_mul_f64 v[168:169], v[237:238], v[168:169]
	s_waitcnt vmcnt(11) lgkmcnt(2)
	v_mul_f64 v[16:17], v[243:244], v[172:173]
	v_mul_f64 v[18:19], v[241:242], v[172:173]
	s_waitcnt vmcnt(10) lgkmcnt(1)
	v_mul_f64 v[20:21], v[247:248], v[179:180]
	v_mul_f64 v[22:23], v[245:246], v[179:180]
	v_fma_f64 v[148:149], v[221:222], v[150:151], -v[148:149]
	v_fma_f64 v[150:151], v[223:224], v[150:151], v[152:153]
	ds_read_b128 v[221:224], v255 offset:8064
	v_fma_f64 v[152:153], v[225:226], v[154:155], -v[174:175]
	ds_read_b128 v[172:175], v255 offset:9072
	v_fma_f64 v[154:155], v[227:228], v[154:155], v[156:157]
	v_fma_f64 v[156:157], v[229:230], v[158:159], -v[253:254]
	s_waitcnt vmcnt(9) lgkmcnt(2)
	v_mul_f64 v[253:254], v[251:252], v[183:184]
	ds_read_b128 v[225:228], v255 offset:10080
	v_mul_f64 v[183:184], v[249:250], v[183:184]
	v_fma_f64 v[158:159], v[231:232], v[158:159], v[160:161]
	ds_read_b128 v[229:232], v255 offset:11088
	v_fma_f64 v[160:161], v[233:234], v[162:163], -v[12:13]
	v_fma_f64 v[162:163], v[235:236], v[162:163], v[14:15]
	v_fma_f64 v[164:165], v[237:238], v[166:167], -v[164:165]
	v_fma_f64 v[166:167], v[239:240], v[166:167], v[168:169]
	;; [unrolled: 2-line block ×3, first 2 shown]
	ds_read_b128 v[233:236], v255 offset:12096
	ds_read_b128 v[237:240], v255 offset:13104
	v_fma_f64 v[241:242], v[245:246], v[177:178], -v[20:21]
	s_waitcnt vmcnt(8) lgkmcnt(5)
	v_mul_f64 v[12:13], v[223:224], v[187:188]
	v_mul_f64 v[14:15], v[221:222], v[187:188]
	s_waitcnt vmcnt(7) lgkmcnt(4)
	v_mul_f64 v[16:17], v[174:175], v[191:192]
	v_mul_f64 v[18:19], v[172:173], v[191:192]
	v_fma_f64 v[243:244], v[247:248], v[177:178], v[22:23]
	ds_read_b128 v[177:180], v255 offset:14112
	ds_read_b128 v[245:248], v255 offset:15120
	s_waitcnt vmcnt(6) lgkmcnt(5)
	v_mul_f64 v[20:21], v[227:228], v[195:196]
	v_mul_f64 v[22:23], v[225:226], v[195:196]
	v_fma_f64 v[249:250], v[249:250], v[181:182], -v[253:254]
	v_fma_f64 v[251:252], v[251:252], v[181:182], v[183:184]
	ds_read_b128 v[181:184], v255 offset:16128
	s_waitcnt vmcnt(5) lgkmcnt(5)
	v_mul_f64 v[191:192], v[231:232], v[199:200]
	v_mul_f64 v[195:196], v[229:230], v[199:200]
	s_waitcnt vmcnt(3) lgkmcnt(3)
	v_mul_f64 v[199:200], v[239:240], v[207:208]
	v_fma_f64 v[221:222], v[221:222], v[185:186], -v[12:13]
	v_fma_f64 v[223:224], v[223:224], v[185:186], v[14:15]
	v_mul_f64 v[12:13], v[235:236], v[203:204]
	v_mul_f64 v[14:15], v[233:234], v[203:204]
	;; [unrolled: 1-line block ×3, first 2 shown]
	v_fma_f64 v[172:173], v[172:173], v[189:190], -v[16:17]
	v_fma_f64 v[174:175], v[174:175], v[189:190], v[18:19]
	s_waitcnt vmcnt(2) lgkmcnt(2)
	v_mul_f64 v[16:17], v[179:180], v[211:212]
	v_mul_f64 v[18:19], v[177:178], v[211:212]
	s_waitcnt vmcnt(1) lgkmcnt(1)
	v_mul_f64 v[207:208], v[247:248], v[215:216]
	v_mul_f64 v[211:212], v[245:246], v[215:216]
	v_fma_f64 v[185:186], v[225:226], v[193:194], -v[20:21]
	v_fma_f64 v[187:188], v[227:228], v[193:194], v[22:23]
	s_waitcnt vmcnt(0) lgkmcnt(0)
	v_mul_f64 v[20:21], v[183:184], v[219:220]
	v_mul_f64 v[22:23], v[181:182], v[219:220]
	v_fma_f64 v[189:190], v[229:230], v[197:198], -v[191:192]
	v_fma_f64 v[191:192], v[231:232], v[197:198], v[195:196]
	v_fma_f64 v[197:198], v[237:238], v[205:206], -v[199:200]
	v_fma_f64 v[193:194], v[233:234], v[201:202], -v[12:13]
	v_fma_f64 v[195:196], v[235:236], v[201:202], v[14:15]
	v_fma_f64 v[199:200], v[239:240], v[205:206], v[203:204]
	v_fma_f64 v[177:178], v[177:178], v[209:210], -v[16:17]
	v_fma_f64 v[179:180], v[179:180], v[209:210], v[18:19]
	v_fma_f64 v[201:202], v[245:246], v[213:214], -v[207:208]
	;; [unrolled: 2-line block ×3, first 2 shown]
	v_fma_f64 v[183:184], v[183:184], v[217:218], v[22:23]
	ds_write_b128 v255, v[148:151]
	ds_write_b128 v255, v[152:155] offset:1008
	ds_write_b128 v255, v[156:159] offset:2016
	;; [unrolled: 1-line block ×16, first 2 shown]
.LBB0_13:
	s_or_b32 exec_lo, exec_lo, s2
	s_waitcnt lgkmcnt(0)
	s_barrier
	buffer_gl0_inv
	s_and_saveexec_b32 s1, vcc_lo
	s_cbranch_execz .LBB0_15
; %bb.14:
	ds_read_b128 v[112:115], v255
	ds_read_b128 v[136:139], v255 offset:1008
	ds_read_b128 v[144:147], v255 offset:2016
	;; [unrolled: 1-line block ×16, first 2 shown]
.LBB0_15:
	s_or_b32 exec_lo, exec_lo, s1
	s_waitcnt lgkmcnt(2)
	v_add_f64 v[193:194], v[142:143], v[10:11]
	s_mov_b32 s24, 0xc61f0d01
	s_mov_b32 s25, 0xbfd183b1
	v_add_f64 v[32:33], v[134:135], -v[94:95]
	v_add_f64 v[219:220], v[134:135], v[94:95]
	s_mov_b32 s22, 0x5d8e7cdc
	s_mov_b32 s26, 0x370991
	s_mov_b32 s23, 0x3fd71e95
	s_mov_b32 s27, 0x3fedd6d0
	s_waitcnt lgkmcnt(0)
	v_add_f64 v[185:186], v[138:139], -v[30:31]
	v_add_f64 v[187:188], v[138:139], v[30:31]
	s_mov_b32 s2, 0xeb564b22
	s_mov_b32 s10, 0x3259b75e
	;; [unrolled: 1-line block ×4, first 2 shown]
	v_add_f64 v[183:184], v[136:137], v[28:29]
	v_add_f64 v[177:178], v[146:147], -v[6:7]
	v_add_f64 v[199:200], v[136:137], -v[28:29]
	v_add_f64 v[181:182], v[146:147], v[6:7]
	s_mov_b32 s8, 0xacd6c6b4
	s_mov_b32 s16, 0x7faef3
	;; [unrolled: 1-line block ×3, first 2 shown]
	v_mul_f64 v[24:25], v[193:194], s[24:25]
	s_mov_b32 s17, 0xbfef7484
	v_add_f64 v[179:180], v[144:145], v[4:5]
	v_mul_f64 v[22:23], v[32:33], s[22:23]
	v_mul_f64 v[26:27], v[219:220], s[26:27]
	v_add_f64 v[195:196], v[144:145], -v[4:5]
	v_add_f64 v[211:212], v[140:141], -v[8:9]
	s_mov_b32 s20, 0x923c349f
	s_mov_b32 s21, 0xbfeec746
	v_mul_f64 v[2:3], v[185:186], s[2:3]
	v_mul_f64 v[60:61], v[187:188], s[10:11]
	s_mov_b32 s19, 0x3feec746
	s_mov_b32 s18, s20
	v_add_f64 v[225:226], v[132:133], -v[92:93]
	v_add_f64 v[62:63], v[130:131], -v[98:99]
	s_mov_b32 s30, 0x7c9e640b
	v_mul_f64 v[0:1], v[177:178], s[8:9]
	s_mov_b32 s31, 0x3feca52d
	v_mul_f64 v[58:59], v[181:182], s[16:17]
	s_mov_b32 s43, 0xbfeca52d
	s_mov_b32 s42, s30
	v_add_f64 v[189:190], v[142:143], -v[10:11]
	buffer_store_dword v24, off, s[60:63], 0 offset:160 ; 4-byte Folded Spill
	buffer_store_dword v25, off, s[60:63], 0 offset:164 ; 4-byte Folded Spill
	;; [unrolled: 1-line block ×6, first 2 shown]
	v_add_f64 v[191:192], v[140:141], v[8:9]
	v_add_f64 v[203:204], v[132:133], v[92:93]
	;; [unrolled: 1-line block ×3, first 2 shown]
	s_mov_b32 s28, 0x2b2883cd
	v_fma_f64 v[12:13], v[183:184], s[10:11], -v[2:3]
	v_fma_f64 v[14:15], v[199:200], s[2:3], v[60:61]
	s_mov_b32 s29, 0x3fdc86fa
	v_add_f64 v[223:224], v[130:131], v[98:99]
	v_add_f64 v[227:228], v[128:129], -v[96:97]
	v_add_f64 v[205:206], v[122:123], -v[102:103]
	s_mov_b32 s36, 0x4363dd80
	v_fma_f64 v[16:17], v[179:180], s[16:17], -v[0:1]
	s_mov_b32 s37, 0xbfe0d888
	v_fma_f64 v[18:19], v[195:196], s[8:9], v[58:59]
	v_add_f64 v[233:234], v[120:121], v[100:101]
	s_mov_b32 s34, 0x910ea3b9
	v_mul_f64 v[34:35], v[189:190], s[18:19]
	s_mov_b32 s35, 0xbfeb34fa
	v_add_f64 v[241:242], v[122:123], v[102:103]
	v_add_f64 v[245:246], v[120:121], -v[100:101]
	v_add_f64 v[215:216], v[126:127], -v[106:107]
	s_mov_b32 s40, 0x6c9a05f6
	s_mov_b32 s41, 0xbfe9895b
	;; [unrolled: 1-line block ×4, first 2 shown]
	v_add_f64 v[229:230], v[124:125], v[104:105]
	v_add_f64 v[12:13], v[112:113], v[12:13]
	;; [unrolled: 1-line block ×3, first 2 shown]
	s_mov_b32 s38, 0x6ed5f1bb
	s_mov_b32 s39, 0xbfe348c8
	v_add_f64 v[243:244], v[126:127], v[106:107]
	v_add_f64 v[249:250], v[124:125], -v[104:105]
	v_add_f64 v[239:240], v[118:119], -v[110:111]
	s_mov_b32 s48, 0x2a9d6da3
	s_mov_b32 s49, 0x3fe58eea
	v_add_f64 v[221:222], v[116:117], v[108:109]
	s_mov_b32 s46, 0x75d4884
	s_mov_b32 s47, 0x3fe7a5f6
	v_fma_f64 v[20:21], v[191:192], s[24:25], -v[34:35]
	v_add_f64 v[231:232], v[118:119], v[110:111]
	v_add_f64 v[247:248], v[116:117], -v[108:109]
	s_mov_b32 s45, 0x3fe0d888
	s_mov_b32 s44, s36
	;; [unrolled: 1-line block ×7, first 2 shown]
	v_add_f64 v[12:13], v[16:17], v[12:13]
	v_add_f64 v[14:15], v[18:19], v[14:15]
	s_mov_b32 s54, s48
	v_mul_f64 v[164:165], v[189:190], s[2:3]
	v_mul_f64 v[166:167], v[193:194], s[10:11]
	;; [unrolled: 1-line block ×8, first 2 shown]
	s_mov_b32 s59, 0x3fc7851a
	s_mov_b32 s58, s8
	v_mul_f64 v[201:202], v[215:216], s[48:49]
	v_mul_f64 v[207:208], v[243:244], s[46:47]
	;; [unrolled: 1-line block ×5, first 2 shown]
	v_add_f64 v[12:13], v[20:21], v[12:13]
	v_fma_f64 v[16:17], v[211:212], s[18:19], v[24:25]
	v_mul_f64 v[24:25], v[243:244], s[24:25]
	v_fma_f64 v[18:19], v[203:204], s[26:27], -v[22:23]
	v_mul_f64 v[22:23], v[181:182], s[28:29]
	v_add_f64 v[14:15], v[16:17], v[14:15]
	v_fma_f64 v[16:17], v[225:226], s[22:23], v[26:27]
	v_fma_f64 v[26:27], v[249:250], s[18:19], v[24:25]
	v_add_f64 v[12:13], v[18:19], v[12:13]
	v_fma_f64 v[152:153], v[195:196], s[42:43], v[22:23]
	v_add_f64 v[14:15], v[16:17], v[14:15]
	v_mul_f64 v[16:17], v[62:63], s[42:43]
	buffer_store_dword v16, off, s[60:63], 0 offset:192 ; 4-byte Folded Spill
	buffer_store_dword v17, off, s[60:63], 0 offset:196 ; 4-byte Folded Spill
	v_fma_f64 v[16:17], v[217:218], s[28:29], -v[16:17]
	v_add_f64 v[12:13], v[16:17], v[12:13]
	v_mul_f64 v[16:17], v[223:224], s[28:29]
	buffer_store_dword v16, off, s[60:63], 0 offset:208 ; 4-byte Folded Spill
	buffer_store_dword v17, off, s[60:63], 0 offset:212 ; 4-byte Folded Spill
	v_fma_f64 v[16:17], v[227:228], s[42:43], v[16:17]
	v_add_f64 v[14:15], v[16:17], v[14:15]
	v_mul_f64 v[16:17], v[205:206], s[36:37]
	buffer_store_dword v16, off, s[60:63], 0 offset:224 ; 4-byte Folded Spill
	buffer_store_dword v17, off, s[60:63], 0 offset:228 ; 4-byte Folded Spill
	v_fma_f64 v[16:17], v[233:234], s[34:35], -v[16:17]
	v_add_f64 v[12:13], v[16:17], v[12:13]
	v_mul_f64 v[16:17], v[241:242], s[34:35]
	buffer_store_dword v16, off, s[60:63], 0 offset:240 ; 4-byte Folded Spill
	buffer_store_dword v17, off, s[60:63], 0 offset:244 ; 4-byte Folded Spill
	;; [unrolled: 10-line block ×3, first 2 shown]
	v_fma_f64 v[16:17], v[249:250], s[52:53], v[16:17]
	v_add_f64 v[14:15], v[16:17], v[14:15]
	v_mul_f64 v[16:17], v[239:240], s[48:49]
	buffer_store_dword v16, off, s[60:63], 0 offset:248 ; 4-byte Folded Spill
	buffer_store_dword v17, off, s[60:63], 0 offset:252 ; 4-byte Folded Spill
	v_fma_f64 v[16:17], v[221:222], s[46:47], -v[16:17]
	v_add_f64 v[148:149], v[16:17], v[12:13]
	v_mul_f64 v[12:13], v[231:232], s[46:47]
	v_mul_f64 v[16:17], v[181:182], s[34:35]
	buffer_store_dword v12, off, s[60:63], 0 offset:264 ; 4-byte Folded Spill
	buffer_store_dword v13, off, s[60:63], 0 offset:268 ; 4-byte Folded Spill
	v_fma_f64 v[12:13], v[247:248], s[48:49], v[12:13]
	v_add_f64 v[150:151], v[12:13], v[14:15]
	v_mul_f64 v[12:13], v[185:186], s[20:21]
	v_mul_f64 v[14:15], v[177:178], s[44:45]
	buffer_store_dword v12, off, s[60:63], 0 offset:440 ; 4-byte Folded Spill
	buffer_store_dword v13, off, s[60:63], 0 offset:444 ; 4-byte Folded Spill
	;; [unrolled: 1-line block ×4, first 2 shown]
	v_fma_f64 v[12:13], v[183:184], s[24:25], -v[12:13]
	v_fma_f64 v[14:15], v[179:180], s[34:35], -v[14:15]
	v_add_f64 v[12:13], v[112:113], v[12:13]
	v_add_f64 v[12:13], v[14:15], v[12:13]
	v_mul_f64 v[14:15], v[187:188], s[24:25]
	buffer_store_dword v14, off, s[60:63], 0 offset:464 ; 4-byte Folded Spill
	buffer_store_dword v15, off, s[60:63], 0 offset:468 ; 4-byte Folded Spill
	;; [unrolled: 1-line block ×4, first 2 shown]
	v_fma_f64 v[14:15], v[199:200], s[20:21], v[14:15]
	v_fma_f64 v[16:17], v[195:196], s[44:45], v[16:17]
	v_add_f64 v[14:15], v[114:115], v[14:15]
	v_add_f64 v[14:15], v[16:17], v[14:15]
	v_mul_f64 v[16:17], v[189:190], s[48:49]
	buffer_store_dword v16, off, s[60:63], 0 offset:280 ; 4-byte Folded Spill
	buffer_store_dword v17, off, s[60:63], 0 offset:284 ; 4-byte Folded Spill
	v_fma_f64 v[16:17], v[191:192], s[46:47], -v[16:17]
	v_add_f64 v[12:13], v[16:17], v[12:13]
	v_mul_f64 v[16:17], v[193:194], s[46:47]
	buffer_store_dword v16, off, s[60:63], 0 offset:320 ; 4-byte Folded Spill
	buffer_store_dword v17, off, s[60:63], 0 offset:324 ; 4-byte Folded Spill
	v_fma_f64 v[16:17], v[211:212], s[48:49], v[16:17]
	v_add_f64 v[14:15], v[16:17], v[14:15]
	v_mul_f64 v[16:17], v[32:33], s[42:43]
	buffer_store_dword v16, off, s[60:63], 0 offset:312 ; 4-byte Folded Spill
	buffer_store_dword v17, off, s[60:63], 0 offset:316 ; 4-byte Folded Spill
	v_fma_f64 v[16:17], v[203:204], s[28:29], -v[16:17]
	v_add_f64 v[12:13], v[16:17], v[12:13]
	v_mul_f64 v[16:17], v[219:220], s[28:29]
	buffer_store_dword v16, off, s[60:63], 0 offset:344 ; 4-byte Folded Spill
	buffer_store_dword v17, off, s[60:63], 0 offset:348 ; 4-byte Folded Spill
	v_fma_f64 v[16:17], v[225:226], s[42:43], v[16:17]
	;; [unrolled: 10-line block ×5, first 2 shown]
	v_add_f64 v[14:15], v[16:17], v[14:15]
	v_mul_f64 v[16:17], v[239:240], s[40:41]
	buffer_store_dword v16, off, s[60:63], 0 offset:288 ; 4-byte Folded Spill
	buffer_store_dword v17, off, s[60:63], 0 offset:292 ; 4-byte Folded Spill
	v_fma_f64 v[16:17], v[221:222], s[38:39], -v[16:17]
	v_add_f64 v[160:161], v[16:17], v[12:13]
	v_mul_f64 v[12:13], v[231:232], s[38:39]
	buffer_store_dword v12, off, s[60:63], 0 offset:336 ; 4-byte Folded Spill
	buffer_store_dword v13, off, s[60:63], 0 offset:340 ; 4-byte Folded Spill
	v_mul_f64 v[16:17], v[181:182], s[24:25]
	v_fma_f64 v[12:13], v[247:248], s[40:41], v[12:13]
	v_add_f64 v[162:163], v[12:13], v[14:15]
	v_mul_f64 v[12:13], v[185:186], s[40:41]
	buffer_store_dword v12, off, s[60:63], 0 offset:512 ; 4-byte Folded Spill
	buffer_store_dword v13, off, s[60:63], 0 offset:516 ; 4-byte Folded Spill
	v_mul_f64 v[14:15], v[177:178], s[18:19]
	buffer_store_dword v14, off, s[60:63], 0 offset:400 ; 4-byte Folded Spill
	buffer_store_dword v15, off, s[60:63], 0 offset:404 ; 4-byte Folded Spill
	v_fma_f64 v[12:13], v[183:184], s[38:39], -v[12:13]
	v_add_f64 v[12:13], v[112:113], v[12:13]
	v_fma_f64 v[14:15], v[179:180], s[24:25], -v[14:15]
	v_add_f64 v[12:13], v[14:15], v[12:13]
	v_mul_f64 v[14:15], v[187:188], s[38:39]
	buffer_store_dword v14, off, s[60:63], 0 offset:520 ; 4-byte Folded Spill
	buffer_store_dword v15, off, s[60:63], 0 offset:524 ; 4-byte Folded Spill
	;; [unrolled: 1-line block ×4, first 2 shown]
	v_fma_f64 v[14:15], v[199:200], s[40:41], v[14:15]
	v_fma_f64 v[16:17], v[195:196], s[18:19], v[16:17]
	v_add_f64 v[14:15], v[114:115], v[14:15]
	v_add_f64 v[14:15], v[16:17], v[14:15]
	v_mul_f64 v[16:17], v[189:190], s[50:51]
	buffer_store_dword v16, off, s[60:63], 0 offset:408 ; 4-byte Folded Spill
	buffer_store_dword v17, off, s[60:63], 0 offset:412 ; 4-byte Folded Spill
	v_fma_f64 v[16:17], v[191:192], s[26:27], -v[16:17]
	v_add_f64 v[12:13], v[16:17], v[12:13]
	v_mul_f64 v[16:17], v[193:194], s[26:27]
	buffer_store_dword v16, off, s[60:63], 0 offset:432 ; 4-byte Folded Spill
	buffer_store_dword v17, off, s[60:63], 0 offset:436 ; 4-byte Folded Spill
	v_fma_f64 v[16:17], v[211:212], s[50:51], v[16:17]
	v_add_f64 v[14:15], v[16:17], v[14:15]
	v_mul_f64 v[16:17], v[32:33], s[36:37]
	buffer_store_dword v16, off, s[60:63], 0 offset:424 ; 4-byte Folded Spill
	buffer_store_dword v17, off, s[60:63], 0 offset:428 ; 4-byte Folded Spill
	v_fma_f64 v[16:17], v[203:204], s[34:35], -v[16:17]
	v_add_f64 v[12:13], v[16:17], v[12:13]
	v_mul_f64 v[16:17], v[219:220], s[34:35]
	buffer_store_dword v16, off, s[60:63], 0 offset:456 ; 4-byte Folded Spill
	buffer_store_dword v17, off, s[60:63], 0 offset:460 ; 4-byte Folded Spill
	v_fma_f64 v[16:17], v[225:226], s[36:37], v[16:17]
	;; [unrolled: 10-line block ×5, first 2 shown]
	v_add_f64 v[14:15], v[16:17], v[14:15]
	v_mul_f64 v[16:17], v[239:240], s[30:31]
	buffer_store_dword v16, off, s[60:63], 0 offset:384 ; 4-byte Folded Spill
	buffer_store_dword v17, off, s[60:63], 0 offset:388 ; 4-byte Folded Spill
	v_fma_f64 v[16:17], v[221:222], s[28:29], -v[16:17]
	v_add_f64 v[235:236], v[16:17], v[12:13]
	v_mul_f64 v[12:13], v[231:232], s[28:29]
	buffer_store_dword v12, off, s[60:63], 0 offset:504 ; 4-byte Folded Spill
	buffer_store_dword v13, off, s[60:63], 0 offset:508 ; 4-byte Folded Spill
	v_mul_f64 v[16:17], v[177:178], s[30:31]
	s_waitcnt_vscnt null, 0x0
	s_barrier
	buffer_gl0_inv
	v_fma_f64 v[18:19], v[179:180], s[28:29], v[16:17]
	v_fma_f64 v[16:17], v[179:180], s[28:29], -v[16:17]
	v_fma_f64 v[12:13], v[247:248], s[30:31], v[12:13]
	v_add_f64 v[237:238], v[12:13], v[14:15]
	v_mul_f64 v[12:13], v[185:186], s[36:37]
	v_fma_f64 v[14:15], v[183:184], s[34:35], v[12:13]
	v_fma_f64 v[12:13], v[183:184], s[34:35], -v[12:13]
	v_add_f64 v[14:15], v[112:113], v[14:15]
	v_add_f64 v[12:13], v[112:113], v[12:13]
	;; [unrolled: 1-line block ×3, first 2 shown]
	v_mul_f64 v[18:19], v[187:188], s[34:35]
	v_add_f64 v[12:13], v[16:17], v[12:13]
	v_fma_f64 v[20:21], v[199:200], s[44:45], v[18:19]
	v_fma_f64 v[16:17], v[199:200], s[36:37], v[18:19]
	;; [unrolled: 1-line block ×3, first 2 shown]
	v_mul_f64 v[22:23], v[181:182], s[26:27]
	v_add_f64 v[20:21], v[114:115], v[20:21]
	v_add_f64 v[16:17], v[114:115], v[16:17]
	;; [unrolled: 1-line block ×3, first 2 shown]
	v_fma_f64 v[152:153], v[191:192], s[10:11], v[164:165]
	v_add_f64 v[16:17], v[18:19], v[16:17]
	v_fma_f64 v[18:19], v[191:192], s[10:11], -v[164:165]
	v_add_f64 v[14:15], v[152:153], v[14:15]
	v_fma_f64 v[152:153], v[211:212], s[56:57], v[166:167]
	v_add_f64 v[12:13], v[18:19], v[12:13]
	v_fma_f64 v[18:19], v[211:212], s[2:3], v[166:167]
	v_add_f64 v[20:21], v[152:153], v[20:21]
	v_fma_f64 v[152:153], v[203:204], s[38:39], v[168:169]
	v_add_f64 v[16:17], v[18:19], v[16:17]
	v_fma_f64 v[18:19], v[203:204], s[38:39], -v[168:169]
	v_fma_f64 v[168:169], v[195:196], s[50:51], v[22:23]
	v_add_f64 v[14:15], v[152:153], v[14:15]
	v_fma_f64 v[152:153], v[225:226], s[40:41], v[170:171]
	v_add_f64 v[12:13], v[18:19], v[12:13]
	;; [unrolled: 2-line block ×4, first 2 shown]
	v_fma_f64 v[18:19], v[217:218], s[26:27], -v[172:173]
	v_mul_f64 v[172:173], v[189:190], s[36:37]
	v_add_f64 v[14:15], v[152:153], v[14:15]
	v_fma_f64 v[152:153], v[227:228], s[22:23], v[174:175]
	v_add_f64 v[12:13], v[18:19], v[12:13]
	v_fma_f64 v[18:19], v[227:228], s[50:51], v[174:175]
	v_mul_f64 v[174:175], v[193:194], s[34:35]
	v_add_f64 v[20:21], v[152:153], v[20:21]
	v_fma_f64 v[152:153], v[233:234], s[16:17], v[253:254]
	v_add_f64 v[16:17], v[18:19], v[16:17]
	v_fma_f64 v[18:19], v[233:234], s[16:17], -v[253:254]
	v_mul_f64 v[253:254], v[205:206], s[30:31]
	v_add_f64 v[14:15], v[152:153], v[14:15]
	v_fma_f64 v[152:153], v[245:246], s[58:59], v[197:198]
	v_add_f64 v[12:13], v[18:19], v[12:13]
	v_fma_f64 v[18:19], v[245:246], s[8:9], v[197:198]
	v_mul_f64 v[197:198], v[32:33], s[48:49]
	v_add_f64 v[20:21], v[152:153], v[20:21]
	v_fma_f64 v[152:153], v[229:230], s[46:47], v[201:202]
	v_add_f64 v[16:17], v[18:19], v[16:17]
	v_fma_f64 v[18:19], v[229:230], s[46:47], -v[201:202]
	v_mul_f64 v[201:202], v[219:220], s[46:47]
	v_add_f64 v[14:15], v[152:153], v[14:15]
	v_fma_f64 v[152:153], v[249:250], s[54:55], v[207:208]
	v_add_f64 v[12:13], v[18:19], v[12:13]
	v_fma_f64 v[18:19], v[249:250], s[48:49], v[207:208]
	v_mul_f64 v[207:208], v[62:63], s[40:41]
	v_add_f64 v[20:21], v[152:153], v[20:21]
	v_fma_f64 v[152:153], v[221:222], s[24:25], v[209:210]
	v_add_f64 v[16:17], v[18:19], v[16:17]
	v_fma_f64 v[18:19], v[221:222], s[24:25], -v[209:210]
	v_mul_f64 v[209:210], v[223:224], s[38:39]
	v_add_f64 v[156:157], v[152:153], v[14:15]
	v_mul_f64 v[14:15], v[231:232], s[24:25]
	v_add_f64 v[152:153], v[18:19], v[12:13]
	v_mul_f64 v[12:13], v[185:186], s[8:9]
	v_fma_f64 v[154:155], v[247:248], s[18:19], v[14:15]
	v_fma_f64 v[14:15], v[247:248], s[20:21], v[14:15]
	v_add_f64 v[158:159], v[154:155], v[20:21]
	v_add_f64 v[154:155], v[14:15], v[16:17]
	v_fma_f64 v[14:15], v[183:184], s[16:17], v[12:13]
	v_mul_f64 v[16:17], v[177:178], s[22:23]
	v_fma_f64 v[12:13], v[183:184], s[16:17], -v[12:13]
	v_add_f64 v[14:15], v[112:113], v[14:15]
	v_fma_f64 v[18:19], v[179:180], s[26:27], v[16:17]
	v_add_f64 v[12:13], v[112:113], v[12:13]
	v_fma_f64 v[16:17], v[179:180], s[26:27], -v[16:17]
	v_add_f64 v[14:15], v[18:19], v[14:15]
	v_mul_f64 v[18:19], v[187:188], s[16:17]
	v_add_f64 v[12:13], v[16:17], v[12:13]
	v_fma_f64 v[20:21], v[199:200], s[58:59], v[18:19]
	v_fma_f64 v[16:17], v[199:200], s[8:9], v[18:19]
	;; [unrolled: 1-line block ×3, first 2 shown]
	v_add_f64 v[20:21], v[114:115], v[20:21]
	v_add_f64 v[16:17], v[114:115], v[16:17]
	;; [unrolled: 1-line block ×3, first 2 shown]
	v_fma_f64 v[168:169], v[191:192], s[34:35], v[172:173]
	v_add_f64 v[16:17], v[18:19], v[16:17]
	v_fma_f64 v[18:19], v[191:192], s[34:35], -v[172:173]
	v_add_f64 v[14:15], v[168:169], v[14:15]
	v_fma_f64 v[168:169], v[211:212], s[44:45], v[174:175]
	v_add_f64 v[12:13], v[18:19], v[12:13]
	v_fma_f64 v[18:19], v[211:212], s[36:37], v[174:175]
	v_add_f64 v[20:21], v[168:169], v[20:21]
	v_fma_f64 v[168:169], v[203:204], s[46:47], v[197:198]
	v_add_f64 v[16:17], v[18:19], v[16:17]
	v_fma_f64 v[18:19], v[203:204], s[46:47], -v[197:198]
	v_add_f64 v[14:15], v[168:169], v[14:15]
	v_fma_f64 v[168:169], v[225:226], s[54:55], v[201:202]
	v_add_f64 v[12:13], v[18:19], v[12:13]
	v_fma_f64 v[18:19], v[225:226], s[48:49], v[201:202]
	v_add_f64 v[20:21], v[168:169], v[20:21]
	;; [unrolled: 8-line block ×4, first 2 shown]
	v_fma_f64 v[168:169], v[229:230], s[24:25], v[251:252]
	v_add_f64 v[16:17], v[18:19], v[16:17]
	v_fma_f64 v[18:19], v[229:230], s[24:25], -v[251:252]
	v_add_f64 v[20:21], v[26:27], v[20:21]
	v_mul_f64 v[26:27], v[239:240], s[56:57]
	v_add_f64 v[14:15], v[168:169], v[14:15]
	v_add_f64 v[12:13], v[18:19], v[12:13]
	v_fma_f64 v[18:19], v[249:250], s[20:21], v[24:25]
	v_fma_f64 v[168:169], v[221:222], s[10:11], v[26:27]
	v_add_f64 v[16:17], v[18:19], v[16:17]
	v_fma_f64 v[18:19], v[221:222], s[10:11], -v[26:27]
	v_add_f64 v[168:169], v[168:169], v[14:15]
	v_mul_f64 v[14:15], v[231:232], s[10:11]
	v_add_f64 v[172:173], v[18:19], v[12:13]
	v_fma_f64 v[170:171], v[247:248], s[2:3], v[14:15]
	v_fma_f64 v[14:15], v[247:248], s[56:57], v[14:15]
	v_add_f64 v[170:171], v[170:171], v[20:21]
	v_add_f64 v[174:175], v[14:15], v[16:17]
	s_and_saveexec_b32 s1, vcc_lo
	s_cbranch_execz .LBB0_17
; %bb.16:
	v_add_f64 v[14:15], v[112:113], v[136:137]
	v_mul_f64 v[22:23], v[183:184], s[10:11]
	v_add_f64 v[12:13], v[114:115], v[138:139]
	v_mul_f64 v[24:25], v[199:200], s[42:43]
	v_mul_f64 v[26:27], v[199:200], s[54:55]
	;; [unrolled: 1-line block ×9, first 2 shown]
	v_mov_b32_e32 v164, v239
	v_mov_b32_e32 v165, v240
	;; [unrolled: 1-line block ×6, first 2 shown]
	v_mul_f64 v[32:33], v[221:222], s[28:29]
	v_mul_f64 v[213:214], v[191:192], s[24:25]
	;; [unrolled: 1-line block ×3, first 2 shown]
	v_add_f64 v[14:15], v[14:15], v[144:145]
	v_add_f64 v[22:23], v[22:23], v[2:3]
	;; [unrolled: 1-line block ×3, first 2 shown]
	v_mul_f64 v[144:145], v[233:234], s[10:11]
	v_mul_f64 v[146:147], v[217:218], s[16:17]
	v_add_f64 v[209:210], v[209:210], v[0:1]
	v_add_f64 v[213:214], v[213:214], v[34:35]
	v_mul_f64 v[34:35], v[221:222], s[38:39]
	v_add_f64 v[14:15], v[14:15], v[140:141]
	v_add_f64 v[22:23], v[112:113], v[22:23]
	;; [unrolled: 1-line block ×3, first 2 shown]
	v_mul_f64 v[140:141], v[211:212], s[48:49]
	v_mul_f64 v[142:143], v[195:196], s[44:45]
	v_add_f64 v[14:15], v[14:15], v[132:133]
	v_mul_f64 v[132:133], v[249:250], s[50:51]
	v_add_f64 v[12:13], v[12:13], v[134:135]
	;; [unrolled: 2-line block ×3, first 2 shown]
	v_add_f64 v[14:15], v[14:15], v[128:129]
	v_mul_f64 v[128:129], v[191:192], s[26:27]
	v_add_f64 v[12:13], v[12:13], v[130:131]
	v_mul_f64 v[130:131], v[179:180], s[24:25]
	v_add_f64 v[22:23], v[213:214], v[22:23]
	v_add_f64 v[14:15], v[14:15], v[120:121]
	v_mul_f64 v[120:121], v[195:196], s[18:19]
	v_add_f64 v[12:13], v[12:13], v[122:123]
	v_mul_f64 v[122:123], v[233:234], s[46:47]
	;; [unrolled: 2-line block ×6, first 2 shown]
	v_add_f64 v[14:15], v[14:15], v[108:109]
	v_add_f64 v[12:13], v[12:13], v[110:111]
	v_add_f64 v[14:15], v[14:15], v[104:105]
	v_mul_f64 v[104:105], v[185:186], s[50:51]
	v_add_f64 v[12:13], v[12:13], v[106:107]
	v_add_f64 v[14:15], v[14:15], v[100:101]
	v_mul_f64 v[100:101], v[185:186], s[42:43]
	v_add_f64 v[12:13], v[12:13], v[102:103]
	v_mul_f64 v[102:103], v[185:186], s[54:55]
	v_fma_f64 v[110:111], v[183:184], s[26:27], v[104:105]
	v_fma_f64 v[104:105], v[183:184], s[26:27], -v[104:105]
	v_mul_f64 v[185:186], v[203:204], s[28:29]
	v_add_f64 v[14:15], v[14:15], v[96:97]
	v_fma_f64 v[106:107], v[183:184], s[28:29], -v[100:101]
	v_add_f64 v[12:13], v[12:13], v[98:99]
	v_fma_f64 v[100:101], v[183:184], s[28:29], v[100:101]
	v_fma_f64 v[108:109], v[183:184], s[46:47], v[102:103]
	v_fma_f64 v[102:103], v[183:184], s[46:47], -v[102:103]
	v_add_f64 v[110:111], v[112:113], v[110:111]
	v_add_f64 v[104:105], v[112:113], v[104:105]
	v_fma_f64 v[96:97], v[187:188], s[46:47], -v[26:27]
	v_fma_f64 v[26:27], v[187:188], s[46:47], v[26:27]
	v_add_f64 v[14:15], v[14:15], v[92:93]
	v_add_f64 v[106:107], v[112:113], v[106:107]
	;; [unrolled: 1-line block ×6, first 2 shown]
	v_mul_f64 v[92:93], v[199:200], s[50:51]
	v_fma_f64 v[94:95], v[187:188], s[28:29], v[24:25]
	v_fma_f64 v[24:25], v[187:188], s[28:29], -v[24:25]
	v_add_f64 v[96:97], v[114:115], v[96:97]
	v_add_f64 v[26:27], v[114:115], v[26:27]
	;; [unrolled: 1-line block ×3, first 2 shown]
	s_clause 0x7
	buffer_load_dword v14, off, s[60:63], 0 offset:520
	buffer_load_dword v15, off, s[60:63], 0 offset:524
	;; [unrolled: 1-line block ×8, first 2 shown]
	v_add_f64 v[10:11], v[12:13], v[10:11]
	v_mul_f64 v[12:13], v[199:200], s[40:41]
	v_fma_f64 v[98:99], v[187:188], s[26:27], -v[92:93]
	v_fma_f64 v[92:93], v[187:188], s[26:27], v[92:93]
	v_add_f64 v[94:95], v[114:115], v[94:95]
	v_add_f64 v[24:25], v[114:115], v[24:25]
	v_mul_f64 v[187:188], v[191:192], s[46:47]
	v_add_f64 v[2:3], v[8:9], v[4:5]
	v_mul_f64 v[4:5], v[247:248], s[30:31]
	v_mul_f64 v[8:9], v[249:250], s[8:9]
	buffer_store_dword v2, off, s[60:63], 0 offset:440 ; 4-byte Folded Spill
	buffer_store_dword v3, off, s[60:63], 0 offset:444 ; 4-byte Folded Spill
	s_clause 0x1
	buffer_load_dword v2, off, s[60:63], 0 offset:504
	buffer_load_dword v3, off, s[60:63], 0 offset:508
	v_add_f64 v[98:99], v[114:115], v[98:99]
	v_add_f64 v[92:93], v[114:115], v[92:93]
	;; [unrolled: 1-line block ×3, first 2 shown]
	v_mul_f64 v[6:7], v[229:230], s[16:17]
	v_mul_f64 v[10:11], v[247:248], s[40:41]
	s_waitcnt vmcnt(8)
	v_add_f64 v[12:13], v[14:15], -v[12:13]
	v_mul_f64 v[14:15], v[183:184], s[38:39]
	v_add_f64 v[12:13], v[114:115], v[12:13]
	s_waitcnt vmcnt(6)
	v_add_f64 v[14:15], v[14:15], v[16:17]
	v_mul_f64 v[16:17], v[199:200], s[20:21]
	s_waitcnt vmcnt(0)
	v_add_f64 v[2:3], v[2:3], -v[4:5]
	v_add_f64 v[14:15], v[112:113], v[14:15]
	v_add_f64 v[16:17], v[18:19], -v[16:17]
	v_mul_f64 v[18:19], v[183:184], s[24:25]
	v_mul_f64 v[183:184], v[179:180], s[34:35]
	;; [unrolled: 1-line block ×3, first 2 shown]
	buffer_store_dword v2, off, s[60:63], 0 offset:464 ; 4-byte Folded Spill
	buffer_store_dword v3, off, s[60:63], 0 offset:468 ; 4-byte Folded Spill
	s_clause 0x1
	buffer_load_dword v2, off, s[60:63], 0 offset:496
	buffer_load_dword v3, off, s[60:63], 0 offset:500
	v_add_f64 v[16:17], v[114:115], v[16:17]
	v_add_f64 v[18:19], v[18:19], v[20:21]
	v_mul_f64 v[20:21], v[199:200], s[2:3]
	v_mul_f64 v[199:200], v[195:196], s[8:9]
	v_add_f64 v[18:19], v[112:113], v[18:19]
	v_mul_f64 v[112:113], v[245:246], s[54:55]
	v_add_f64 v[20:21], v[60:61], -v[20:21]
	v_add_f64 v[199:200], v[58:59], -v[199:200]
	v_add_f64 v[20:21], v[114:115], v[20:21]
	v_mul_f64 v[114:115], v[227:228], s[56:57]
	v_add_f64 v[20:21], v[199:200], v[20:21]
	s_waitcnt vmcnt(0)
	v_add_f64 v[2:3], v[2:3], -v[8:9]
	buffer_store_dword v2, off, s[60:63], 0 offset:496 ; 4-byte Folded Spill
	buffer_store_dword v3, off, s[60:63], 0 offset:500 ; 4-byte Folded Spill
	s_clause 0x1
	buffer_load_dword v2, off, s[60:63], 0 offset:488
	buffer_load_dword v3, off, s[60:63], 0 offset:492
	s_waitcnt vmcnt(0)
	v_add_f64 v[2:3], v[2:3], -v[112:113]
	buffer_store_dword v2, off, s[60:63], 0 offset:488 ; 4-byte Folded Spill
	buffer_store_dword v3, off, s[60:63], 0 offset:492 ; 4-byte Folded Spill
	s_clause 0x1
	buffer_load_dword v2, off, s[60:63], 0 offset:480
	buffer_load_dword v3, off, s[60:63], 0 offset:484
	s_waitcnt vmcnt(0)
	v_add_f64 v[112:113], v[2:3], -v[114:115]
	s_clause 0x1
	buffer_load_dword v2, off, s[60:63], 0 offset:456
	buffer_load_dword v3, off, s[60:63], 0 offset:460
	s_waitcnt vmcnt(0)
	v_add_f64 v[8:9], v[2:3], -v[116:117]
	s_clause 0x1
	buffer_load_dword v2, off, s[60:63], 0 offset:432
	buffer_load_dword v3, off, s[60:63], 0 offset:436
	v_mov_b32_e32 v117, v91
	v_mov_b32_e32 v116, v90
	;; [unrolled: 1-line block ×12, first 2 shown]
	v_mul_f64 v[28:29], v[217:218], s[28:29]
	v_mul_f64 v[30:31], v[249:250], s[52:53]
	s_waitcnt vmcnt(0)
	v_add_f64 v[118:119], v[2:3], -v[118:119]
	s_clause 0x1
	buffer_load_dword v2, off, s[60:63], 0 offset:416
	buffer_load_dword v3, off, s[60:63], 0 offset:420
	s_waitcnt vmcnt(0)
	v_add_f64 v[120:121], v[2:3], -v[120:121]
	s_clause 0x1
	buffer_load_dword v2, off, s[60:63], 0 offset:472
	buffer_load_dword v3, off, s[60:63], 0 offset:476
	v_add_f64 v[12:13], v[120:121], v[12:13]
	v_mul_f64 v[120:121], v[189:190], s[58:59]
	v_add_f64 v[12:13], v[118:119], v[12:13]
	v_add_f64 v[12:13], v[8:9], v[12:13]
	v_add_f64 v[12:13], v[112:113], v[12:13]
	s_waitcnt vmcnt(0)
	v_add_f64 v[122:123], v[122:123], v[2:3]
	s_clause 0x1
	buffer_load_dword v2, off, s[60:63], 0 offset:448
	buffer_load_dword v3, off, s[60:63], 0 offset:452
	s_waitcnt vmcnt(0)
	v_add_f64 v[124:125], v[124:125], v[2:3]
	s_clause 0x1
	buffer_load_dword v2, off, s[60:63], 0 offset:424
	buffer_load_dword v3, off, s[60:63], 0 offset:428
	;; [unrolled: 5-line block ×5, first 2 shown]
	v_add_f64 v[14:15], v[130:131], v[14:15]
	v_mul_f64 v[130:131], v[189:190], s[40:41]
	v_add_f64 v[14:15], v[128:129], v[14:15]
	v_add_f64 v[14:15], v[126:127], v[14:15]
	;; [unrolled: 1-line block ×4, first 2 shown]
	s_waitcnt vmcnt(0)
	v_add_f64 v[132:133], v[2:3], -v[132:133]
	s_clause 0x1
	buffer_load_dword v2, off, s[60:63], 0 offset:368
	buffer_load_dword v3, off, s[60:63], 0 offset:372
	s_waitcnt vmcnt(0)
	v_add_f64 v[134:135], v[2:3], -v[134:135]
	s_clause 0x1
	buffer_load_dword v2, off, s[60:63], 0 offset:360
	buffer_load_dword v3, off, s[60:63], 0 offset:364
	;; [unrolled: 5-line block ×6, first 2 shown]
	v_add_f64 v[16:17], v[142:143], v[16:17]
	v_mul_f64 v[142:143], v[189:190], s[42:43]
	v_fma_f64 v[189:190], v[191:192], s[38:39], v[130:131]
	v_fma_f64 v[130:131], v[191:192], s[38:39], -v[130:131]
	v_add_f64 v[16:17], v[140:141], v[16:17]
	v_add_f64 v[16:17], v[138:139], v[16:17]
	;; [unrolled: 1-line block ×4, first 2 shown]
	s_waitcnt vmcnt(0)
	v_add_f64 v[144:145], v[144:145], v[2:3]
	s_clause 0x1
	buffer_load_dword v2, off, s[60:63], 0 offset:328
	buffer_load_dword v3, off, s[60:63], 0 offset:332
	s_waitcnt vmcnt(0)
	v_add_f64 v[146:147], v[146:147], v[2:3]
	s_clause 0x1
	buffer_load_dword v2, off, s[60:63], 0 offset:272
	buffer_load_dword v3, off, s[60:63], 0 offset:276
	;; [unrolled: 5-line block ×3, first 2 shown]
	v_add_f64 v[18:19], v[183:184], v[18:19]
	v_fma_f64 v[183:184], v[191:192], s[16:17], -v[120:121]
	v_fma_f64 v[120:121], v[191:192], s[16:17], v[120:121]
	s_waitcnt vmcnt(0)
	v_add_f64 v[185:186], v[185:186], v[2:3]
	s_clause 0x1
	buffer_load_dword v2, off, s[60:63], 0 offset:280
	buffer_load_dword v3, off, s[60:63], 0 offset:284
	s_waitcnt vmcnt(0)
	v_add_f64 v[187:188], v[187:188], v[2:3]
	s_clause 0x1
	buffer_load_dword v2, off, s[60:63], 0 offset:240
	buffer_load_dword v3, off, s[60:63], 0 offset:244
	v_add_f64 v[18:19], v[187:188], v[18:19]
	v_add_f64 v[18:19], v[185:186], v[18:19]
	;; [unrolled: 1-line block ×4, first 2 shown]
	s_waitcnt vmcnt(0)
	v_add_f64 v[197:198], v[2:3], -v[197:198]
	s_clause 0x1
	buffer_load_dword v2, off, s[60:63], 0 offset:160
	buffer_load_dword v3, off, s[60:63], 0 offset:164
	s_waitcnt vmcnt(0)
	v_add_f64 v[201:202], v[2:3], -v[201:202]
	s_clause 0x3
	buffer_load_dword v2, off, s[60:63], 0 offset:176
	buffer_load_dword v3, off, s[60:63], 0 offset:180
	;; [unrolled: 1-line block ×4, first 2 shown]
	v_add_f64 v[20:21], v[201:202], v[20:21]
	s_waitcnt vmcnt(2)
	v_add_f64 v[207:208], v[2:3], -v[207:208]
	s_waitcnt vmcnt(0)
	v_add_f64 v[251:252], v[0:1], -v[251:252]
	s_clause 0x1
	buffer_load_dword v0, off, s[60:63], 0 offset:12
	buffer_load_dword v1, off, s[60:63], 0 offset:16
	v_add_f64 v[20:21], v[207:208], v[20:21]
	v_add_f64 v[20:21], v[251:252], v[20:21]
	;; [unrolled: 1-line block ×3, first 2 shown]
	s_waitcnt vmcnt(0)
	v_add_f64 v[253:254], v[253:254], v[0:1]
	s_clause 0x1
	buffer_load_dword v0, off, s[60:63], 0 offset:392
	buffer_load_dword v1, off, s[60:63], 0 offset:396
	v_add_f64 v[22:23], v[253:254], v[22:23]
	s_waitcnt vmcnt(0)
	v_add_f64 v[6:7], v[6:7], v[0:1]
	s_clause 0x1
	buffer_load_dword v0, off, s[60:63], 0 offset:336
	buffer_load_dword v1, off, s[60:63], 0 offset:340
	v_add_f64 v[14:15], v[6:7], v[14:15]
	s_waitcnt vmcnt(0)
	v_add_f64 v[10:11], v[0:1], -v[10:11]
	s_clause 0x1
	buffer_load_dword v0, off, s[60:63], 0 offset:296
	buffer_load_dword v1, off, s[60:63], 0 offset:300
	s_waitcnt vmcnt(0)
	v_add_f64 v[4:5], v[4:5], v[0:1]
	s_clause 0x1
	buffer_load_dword v0, off, s[60:63], 0 offset:192
	buffer_load_dword v1, off, s[60:63], 0 offset:196
	v_add_f64 v[6:7], v[4:5], v[18:19]
	v_mul_f64 v[4:5], v[227:228], s[20:21]
	s_waitcnt vmcnt(0)
	v_add_f64 v[28:29], v[28:29], v[0:1]
	s_clause 0x1
	buffer_load_dword v0, off, s[60:63], 0 offset:256
	buffer_load_dword v1, off, s[60:63], 0 offset:260
	v_add_f64 v[22:23], v[28:29], v[22:23]
	v_mul_f64 v[28:29], v[227:228], s[48:49]
	s_waitcnt vmcnt(0)
	v_add_f64 v[30:31], v[0:1], -v[30:31]
	s_clause 0x1
	buffer_load_dword v0, off, s[60:63], 0 offset:384
	buffer_load_dword v1, off, s[60:63], 0 offset:388
	s_waitcnt vmcnt(0)
	v_add_f64 v[0:1], v[32:33], v[0:1]
	buffer_store_dword v0, off, s[60:63], 0 offset:240 ; 4-byte Folded Spill
	buffer_store_dword v1, off, s[60:63], 0 offset:244 ; 4-byte Folded Spill
	s_clause 0x1
	buffer_load_dword v0, off, s[60:63], 0 offset:288
	buffer_load_dword v1, off, s[60:63], 0 offset:292
	s_waitcnt vmcnt(0)
	v_add_f64 v[0:1], v[34:35], v[0:1]
	buffer_store_dword v0, off, s[60:63], 0 offset:256 ; 4-byte Folded Spill
	buffer_store_dword v1, off, s[60:63], 0 offset:260 ; 4-byte Folded Spill
	s_clause 0x5
	buffer_load_dword v2, off, s[60:63], 0 offset:224
	buffer_load_dword v3, off, s[60:63], 0 offset:228
	;; [unrolled: 1-line block ×6, first 2 shown]
	v_mul_f64 v[0:1], v[233:234], s[34:35]
	s_waitcnt vmcnt(4)
	v_add_f64 v[0:1], v[0:1], v[2:3]
	v_mul_f64 v[2:3], v[247:248], s[48:49]
	v_add_f64 v[0:1], v[0:1], v[22:23]
	s_waitcnt vmcnt(2)
	v_add_f64 v[2:3], v[32:33], -v[2:3]
	v_mul_f64 v[32:33], v[221:222], s[46:47]
	v_mul_f64 v[22:23], v[245:246], s[50:51]
	s_waitcnt vmcnt(0)
	v_add_f64 v[32:33], v[32:33], v[34:35]
	buffer_store_dword v32, off, s[60:63], 0 offset:224 ; 4-byte Folded Spill
	buffer_store_dword v33, off, s[60:63], 0 offset:228 ; 4-byte Folded Spill
	s_clause 0x1
	buffer_load_dword v32, off, s[60:63], 0 offset:232
	buffer_load_dword v33, off, s[60:63], 0 offset:236
	buffer_store_dword v235, off, s[60:63], 0 offset:192 ; 4-byte Folded Spill
	buffer_store_dword v236, off, s[60:63], 0 offset:196 ; 4-byte Folded Spill
	;; [unrolled: 1-line block ×20, first 2 shown]
	s_clause 0x1
	buffer_load_dword v8, off, s[60:63], 0 offset:488
	buffer_load_dword v9, off, s[60:63], 0 offset:492
	v_mov_b32_e32 v238, v75
	v_mov_b32_e32 v237, v74
	;; [unrolled: 1-line block ×8, first 2 shown]
	v_mul_f64 v[36:37], v[195:196], s[40:41]
	v_mul_f64 v[38:39], v[195:196], s[2:3]
	;; [unrolled: 1-line block ×3, first 2 shown]
	v_mov_b32_e32 v151, v79
	v_mov_b32_e32 v159, v83
	;; [unrolled: 1-line block ×10, first 2 shown]
	v_mul_f64 v[34:35], v[229:230], s[38:39]
	v_mov_b32_e32 v78, v42
	v_mov_b32_e32 v77, v41
	;; [unrolled: 1-line block ×8, first 2 shown]
	v_fma_f64 v[40:41], v[181:182], s[38:39], v[36:37]
	v_fma_f64 v[36:37], v[181:182], s[38:39], -v[36:37]
	v_fma_f64 v[42:43], v[181:182], s[10:11], -v[38:39]
	v_fma_f64 v[38:39], v[181:182], s[10:11], v[38:39]
	v_fma_f64 v[44:45], v[181:182], s[46:47], -v[195:196]
	v_fma_f64 v[46:47], v[181:182], s[46:47], v[195:196]
	v_mul_f64 v[181:182], v[177:178], s[40:41]
	v_mul_f64 v[195:196], v[177:178], s[2:3]
	;; [unrolled: 1-line block ×3, first 2 shown]
	v_mov_b32_e32 v153, v69
	v_mov_b32_e32 v152, v68
	;; [unrolled: 1-line block ×14, first 2 shown]
	v_add_f64 v[40:41], v[40:41], v[94:95]
	v_add_f64 v[24:25], v[36:37], v[24:25]
	v_mul_f64 v[94:95], v[225:226], s[18:19]
	v_add_f64 v[42:43], v[42:43], v[96:97]
	v_add_f64 v[46:47], v[46:47], v[92:93]
	v_fma_f64 v[50:51], v[179:180], s[38:39], v[181:182]
	v_fma_f64 v[48:49], v[179:180], s[38:39], -v[181:182]
	v_fma_f64 v[54:55], v[179:180], s[46:47], -v[177:178]
	v_fma_f64 v[181:182], v[179:180], s[10:11], v[195:196]
	v_fma_f64 v[195:196], v[179:180], s[10:11], -v[195:196]
	v_add_f64 v[26:27], v[38:39], v[26:27]
	v_mul_f64 v[96:97], v[225:226], s[8:9]
	v_add_f64 v[44:45], v[44:45], v[98:99]
	v_mul_f64 v[98:99], v[225:226], s[2:3]
	v_add_f64 v[36:37], v[50:51], v[100:101]
	v_fma_f64 v[100:101], v[219:220], s[24:25], v[94:95]
	v_fma_f64 v[94:95], v[219:220], s[24:25], -v[94:95]
	v_add_f64 v[54:55], v[54:55], v[104:105]
	v_add_f64 v[38:39], v[195:196], v[102:103]
	;; [unrolled: 1-line block ×3, first 2 shown]
	v_fma_f64 v[102:103], v[219:220], s[16:17], -v[96:97]
	v_fma_f64 v[96:97], v[219:220], s[16:17], v[96:97]
	v_fma_f64 v[106:107], v[219:220], s[10:11], -v[98:99]
	v_fma_f64 v[98:99], v[219:220], s[10:11], v[98:99]
	v_add_f64 v[36:37], v[120:121], v[36:37]
	v_add_f64 v[38:39], v[130:131], v[38:39]
	;; [unrolled: 1-line block ×3, first 2 shown]
	s_waitcnt vmcnt(2)
	v_add_f64 v[34:35], v[34:35], v[32:33]
	v_mov_b32_e32 v32, v52
	v_mov_b32_e32 v33, v53
	v_fma_f64 v[52:53], v[179:180], s[46:47], v[177:178]
	v_mul_f64 v[177:178], v[211:212], s[58:59]
	v_mul_f64 v[179:180], v[211:212], s[40:41]
	s_waitcnt vmcnt(0)
	v_add_f64 v[12:13], v[8:9], v[12:13]
	s_clause 0x1
	buffer_load_dword v8, off, s[60:63], 0 offset:496
	buffer_load_dword v9, off, s[60:63], 0 offset:500
	v_mul_f64 v[211:212], v[211:212], s[42:43]
	v_add_f64 v[0:1], v[34:35], v[0:1]
	v_add_f64 v[50:51], v[52:53], v[110:111]
	v_fma_f64 v[56:57], v[193:194], s[16:17], v[177:178]
	v_fma_f64 v[58:59], v[193:194], s[16:17], -v[177:178]
	v_fma_f64 v[177:178], v[193:194], s[38:39], -v[179:180]
	v_fma_f64 v[179:180], v[193:194], s[38:39], v[179:180]
	v_fma_f64 v[60:61], v[193:194], s[28:29], -v[211:212]
	v_fma_f64 v[211:212], v[193:194], s[28:29], v[211:212]
	v_fma_f64 v[193:194], v[191:192], s[28:29], v[142:143]
	v_add_f64 v[52:53], v[181:182], v[108:109]
	v_fma_f64 v[142:143], v[191:192], s[28:29], -v[142:143]
	v_add_f64 v[110:111], v[166:167], v[66:67]
	v_add_f64 v[40:41], v[56:57], v[40:41]
	v_mul_f64 v[56:57], v[215:216], s[18:19]
	v_add_f64 v[24:25], v[58:59], v[24:25]
	v_mul_f64 v[58:59], v[215:216], s[8:9]
	v_add_f64 v[42:43], v[177:178], v[42:43]
	v_add_f64 v[44:45], v[60:61], v[44:45]
	v_mul_f64 v[60:61], v[215:216], s[2:3]
	v_add_f64 v[50:51], v[193:194], v[50:51]
	v_add_f64 v[52:53], v[189:190], v[52:53]
	;; [unrolled: 1-line block ×6, first 2 shown]
	v_fma_f64 v[92:93], v[203:204], s[24:25], -v[56:57]
	v_fma_f64 v[56:57], v[203:204], s[24:25], v[56:57]
	v_add_f64 v[24:25], v[94:95], v[24:25]
	v_fma_f64 v[104:105], v[203:204], s[16:17], v[58:59]
	v_fma_f64 v[58:59], v[203:204], s[16:17], -v[58:59]
	v_add_f64 v[42:43], v[102:103], v[42:43]
	v_fma_f64 v[108:109], v[203:204], s[10:11], v[60:61]
	v_add_f64 v[44:45], v[106:107], v[44:45]
	v_add_f64 v[26:27], v[96:97], v[26:27]
	v_fma_f64 v[60:61], v[203:204], s[10:11], -v[60:61]
	v_mul_f64 v[94:95], v[239:240], s[30:31]
	v_mul_f64 v[100:101], v[164:165], s[22:23]
	;; [unrolled: 1-line block ×4, first 2 shown]
	v_add_f64 v[48:49], v[92:93], v[48:49]
	v_add_f64 v[36:37], v[56:57], v[36:37]
	v_fma_f64 v[56:57], v[223:224], s[46:47], v[28:29]
	v_fma_f64 v[28:29], v[223:224], s[46:47], -v[28:29]
	v_add_f64 v[38:39], v[58:59], v[38:39]
	v_add_f64 v[52:53], v[104:105], v[52:53]
	;; [unrolled: 1-line block ×3, first 2 shown]
	v_mul_f64 v[92:93], v[249:250], s[36:37]
	v_add_f64 v[54:55], v[60:61], v[54:55]
	v_fma_f64 v[112:113], v[221:222], s[34:35], v[102:103]
	v_add_f64 v[40:41], v[56:57], v[40:41]
	v_mul_f64 v[56:57], v[62:63], s[48:49]
	v_add_f64 v[24:25], v[28:29], v[24:25]
	v_fma_f64 v[28:29], v[217:218], s[46:47], v[56:57]
	v_fma_f64 v[58:59], v[217:218], s[46:47], -v[56:57]
	v_add_f64 v[28:29], v[28:29], v[36:37]
	v_mul_f64 v[36:37], v[227:228], s[44:45]
	v_add_f64 v[48:49], v[58:59], v[48:49]
	v_fma_f64 v[56:57], v[223:224], s[34:35], -v[36:37]
	v_fma_f64 v[18:19], v[223:224], s[34:35], v[36:37]
	v_mul_f64 v[36:37], v[62:63], s[20:21]
	v_add_f64 v[42:43], v[56:57], v[42:43]
	v_fma_f64 v[56:57], v[241:242], s[26:27], v[22:23]
	v_fma_f64 v[22:23], v[241:242], s[26:27], -v[22:23]
	v_add_f64 v[18:19], v[18:19], v[26:27]
	v_add_f64 v[40:41], v[56:57], v[40:41]
	v_mul_f64 v[56:57], v[205:206], s[50:51]
	v_add_f64 v[22:23], v[22:23], v[24:25]
	v_add_f64 v[24:25], v[98:99], v[46:47]
	v_mul_f64 v[98:99], v[247:248], s[8:9]
	v_fma_f64 v[58:59], v[233:234], s[26:27], -v[56:57]
	v_fma_f64 v[120:121], v[231:232], s[16:17], v[98:99]
	v_add_f64 v[48:49], v[58:59], v[48:49]
	v_fma_f64 v[58:59], v[217:218], s[24:25], v[36:37]
	v_fma_f64 v[36:37], v[217:218], s[24:25], -v[36:37]
	v_add_f64 v[36:37], v[36:37], v[54:55]
	v_mul_f64 v[54:55], v[249:250], s[30:31]
	s_waitcnt vmcnt(0)
	v_add_f64 v[8:9], v[8:9], v[12:13]
	v_add_f64 v[12:13], v[132:133], v[16:17]
	;; [unrolled: 1-line block ×3, first 2 shown]
	v_fma_f64 v[20:21], v[223:224], s[24:25], -v[4:5]
	v_mul_f64 v[30:31], v[62:63], s[44:45]
	v_fma_f64 v[4:5], v[223:224], s[24:25], v[4:5]
	v_mul_f64 v[62:63], v[249:250], s[2:3]
	v_add_f64 v[20:21], v[20:21], v[44:45]
	v_fma_f64 v[46:47], v[217:218], s[34:35], v[30:31]
	v_add_f64 v[44:45], v[58:59], v[50:51]
	v_mul_f64 v[50:51], v[245:246], s[18:19]
	v_mul_f64 v[58:59], v[205:206], s[40:41]
	v_add_f64 v[4:5], v[4:5], v[24:25]
	v_fma_f64 v[24:25], v[233:234], s[26:27], v[56:57]
	v_fma_f64 v[30:31], v[217:218], s[34:35], -v[30:31]
	v_add_f64 v[46:47], v[46:47], v[52:53]
	v_mul_f64 v[52:53], v[245:246], s[40:41]
	v_fma_f64 v[26:27], v[241:242], s[24:25], -v[50:51]
	v_fma_f64 v[60:61], v[233:234], s[38:39], v[58:59]
	v_fma_f64 v[58:59], v[233:234], s[38:39], -v[58:59]
	v_add_f64 v[24:25], v[24:25], v[28:29]
	v_mul_f64 v[28:29], v[239:240], s[36:37]
	v_add_f64 v[30:31], v[30:31], v[38:39]
	v_mul_f64 v[38:39], v[205:206], s[18:19]
	v_add_f64 v[26:27], v[26:27], v[42:43]
	v_fma_f64 v[42:43], v[241:242], s[24:25], v[50:51]
	v_fma_f64 v[50:51], v[241:242], s[38:39], -v[52:53]
	v_fma_f64 v[52:53], v[241:242], s[38:39], v[52:53]
	v_add_f64 v[44:45], v[60:61], v[44:45]
	v_fma_f64 v[60:61], v[243:244], s[28:29], -v[54:55]
	v_fma_f64 v[56:57], v[233:234], s[24:25], v[38:39]
	v_fma_f64 v[38:39], v[233:234], s[24:25], -v[38:39]
	v_add_f64 v[36:37], v[58:59], v[36:37]
	v_mul_f64 v[58:59], v[164:165], s[8:9]
	v_add_f64 v[18:19], v[42:43], v[18:19]
	v_add_f64 v[20:21], v[50:51], v[20:21]
	v_fma_f64 v[42:43], v[243:244], s[34:35], -v[92:93]
	v_add_f64 v[52:53], v[52:53], v[4:5]
	v_fma_f64 v[4:5], v[229:230], s[34:35], v[28:29]
	v_fma_f64 v[50:51], v[243:244], s[10:11], -v[62:63]
	v_add_f64 v[46:47], v[56:57], v[46:47]
	v_add_f64 v[30:31], v[38:39], v[30:31]
	v_fma_f64 v[38:39], v[243:244], s[10:11], v[62:63]
	v_fma_f64 v[62:63], v[229:230], s[28:29], v[94:95]
	v_mul_f64 v[56:57], v[239:240], s[2:3]
	v_add_f64 v[26:27], v[60:61], v[26:27]
	v_fma_f64 v[28:29], v[229:230], s[34:35], -v[28:29]
	v_add_f64 v[20:21], v[42:43], v[20:21]
	v_add_f64 v[42:43], v[4:5], v[44:45]
	s_clause 0x1
	buffer_load_dword v4, off, s[60:63], 0 offset:464
	buffer_load_dword v5, off, s[60:63], 0 offset:468
	v_add_f64 v[22:23], v[50:51], v[22:23]
	v_fma_f64 v[50:51], v[243:244], s[28:29], v[54:55]
	v_fma_f64 v[54:55], v[243:244], s[34:35], v[92:93]
	v_fma_f64 v[92:93], v[229:230], s[28:29], -v[94:95]
	v_mul_f64 v[94:95], v[247:248], s[36:37]
	v_add_f64 v[44:45], v[62:63], v[46:47]
	v_fma_f64 v[60:61], v[229:230], s[10:11], -v[56:57]
	v_add_f64 v[34:35], v[38:39], v[40:41]
	v_fma_f64 v[38:39], v[221:222], s[16:17], v[58:59]
	v_fma_f64 v[40:41], v[221:222], s[26:27], v[100:101]
	v_fma_f64 v[62:63], v[231:232], s[16:17], -v[98:99]
	v_add_f64 v[28:29], v[28:29], v[36:37]
	v_fma_f64 v[56:57], v[229:230], s[10:11], v[56:57]
	v_add_f64 v[18:19], v[50:51], v[18:19]
	v_fma_f64 v[50:51], v[231:232], s[26:27], v[96:97]
	v_add_f64 v[30:31], v[92:93], v[30:31]
	v_fma_f64 v[46:47], v[231:232], s[34:35], -v[94:95]
	v_add_f64 v[52:53], v[54:55], v[52:53]
	v_add_f64 v[48:49], v[60:61], v[48:49]
	v_fma_f64 v[60:61], v[221:222], s[26:27], -v[100:101]
	v_add_f64 v[104:105], v[38:39], v[42:43]
	v_mov_b32_e32 v36, v72
	v_add_f64 v[100:101], v[40:41], v[44:45]
	v_mov_b32_e32 v40, v76
	v_mov_b32_e32 v37, v73
	;; [unrolled: 1-line block ×15, first 2 shown]
	v_add_f64 v[98:99], v[46:47], v[22:23]
	v_mov_b32_e32 v44, v80
	v_mov_b32_e32 v45, v81
	;; [unrolled: 1-line block ×8, first 2 shown]
	v_add_f64 v[24:25], v[56:57], v[24:25]
	v_fma_f64 v[56:57], v[231:232], s[26:27], -v[96:97]
	v_fma_f64 v[54:55], v[221:222], s[16:17], -v[58:59]
	v_add_f64 v[118:119], v[50:51], v[18:19]
	v_add_f64 v[122:123], v[120:121], v[52:53]
	;; [unrolled: 1-line block ×3, first 2 shown]
	v_mov_b32_e32 v53, v33
	v_mov_b32_e32 v52, v32
	v_add_f64 v[96:97], v[112:113], v[24:25]
	v_add_f64 v[120:121], v[54:55], v[28:29]
	s_waitcnt vmcnt(0)
	v_add_f64 v[4:5], v[4:5], v[8:9]
	v_add_f64 v[8:9], v[10:11], v[12:13]
	v_fma_f64 v[10:11], v[231:232], s[34:35], v[94:95]
	v_add_f64 v[94:95], v[2:3], v[16:17]
	s_clause 0xd
	buffer_load_dword v2, off, s[60:63], 0 offset:440
	buffer_load_dword v3, off, s[60:63], 0 offset:444
	buffer_load_dword v235, off, s[60:63], 0 offset:192
	buffer_load_dword v236, off, s[60:63], 0 offset:196
	buffer_load_dword v237, off, s[60:63], 0 offset:200
	buffer_load_dword v238, off, s[60:63], 0 offset:204
	buffer_load_dword v156, off, s[60:63], 0 offset:160
	buffer_load_dword v157, off, s[60:63], 0 offset:164
	buffer_load_dword v158, off, s[60:63], 0 offset:168
	buffer_load_dword v159, off, s[60:63], 0 offset:172
	buffer_load_dword v148, off, s[60:63], 0 offset:12
	buffer_load_dword v149, off, s[60:63], 0 offset:16
	buffer_load_dword v150, off, s[60:63], 0 offset:20
	buffer_load_dword v151, off, s[60:63], 0 offset:24
	v_fma_f64 v[12:13], v[221:222], s[34:35], -v[102:103]
	v_add_f64 v[102:103], v[56:57], v[26:27]
	v_mov_b32_e32 v54, v68
	v_mov_b32_e32 v55, v69
	;; [unrolled: 1-line block ×8, first 2 shown]
	v_add_f64 v[112:113], v[12:13], v[48:49]
	v_mov_b32_e32 v48, v84
	v_mov_b32_e32 v49, v85
	;; [unrolled: 1-line block ×8, first 2 shown]
	s_waitcnt vmcnt(12)
	v_add_f64 v[108:109], v[2:3], v[64:65]
	s_clause 0x1
	buffer_load_dword v2, off, s[60:63], 0 offset:224
	buffer_load_dword v3, off, s[60:63], 0 offset:228
	v_mov_b32_e32 v64, v88
	v_mov_b32_e32 v65, v89
	;; [unrolled: 1-line block ×8, first 2 shown]
	v_add_f64 v[114:115], v[10:11], v[34:35]
	v_add_f64 v[116:117], v[60:61], v[30:31]
	s_waitcnt vmcnt(0)
	v_add_f64 v[92:93], v[2:3], v[0:1]
	s_clause 0x1
	buffer_load_dword v0, off, s[60:63], 0 offset:256
	buffer_load_dword v1, off, s[60:63], 0 offset:260
	s_waitcnt vmcnt(0)
	v_add_f64 v[6:7], v[0:1], v[6:7]
	s_clause 0x5
	buffer_load_dword v0, off, s[60:63], 0 offset:240
	buffer_load_dword v1, off, s[60:63], 0 offset:244
	;; [unrolled: 1-line block ×6, first 2 shown]
	s_waitcnt vmcnt(4)
	v_add_f64 v[2:3], v[0:1], v[14:15]
	s_clause 0x4
	buffer_load_dword v152, off, s[60:63], 0 offset:208
	buffer_load_dword v153, off, s[60:63], 0 offset:212
	;; [unrolled: 1-line block ×5, first 2 shown]
	v_mov_b32_e32 v0, 4
	s_waitcnt vmcnt(0)
	v_lshlrev_b32_sdwa v0, v0, v1 dst_sel:DWORD dst_unused:UNUSED_PAD src0_sel:DWORD src1_sel:WORD_0
	ds_write_b128 v0, v[108:111]
	ds_write_b128 v0, v[104:107] offset:16
	ds_write_b128 v0, v[100:103] offset:32
	;; [unrolled: 1-line block ×16, first 2 shown]
.LBB0_17:
	s_or_b32 exec_lo, exec_lo, s1
	s_waitcnt lgkmcnt(0)
	s_waitcnt_vscnt null, 0x0
	s_barrier
	buffer_gl0_inv
	ds_read_b128 v[0:3], v255
	ds_read_b128 v[100:103], v255 offset:2448
	ds_read_b128 v[96:99], v255 offset:4896
	;; [unrolled: 1-line block ×6, first 2 shown]
	s_and_saveexec_b32 s1, s0
	s_cbranch_execz .LBB0_19
; %bb.18:
	ds_read_b128 v[156:159], v255 offset:1904
	ds_read_b128 v[168:171], v255 offset:4352
	;; [unrolled: 1-line block ×7, first 2 shown]
.LBB0_19:
	s_or_b32 exec_lo, exec_lo, s1
	s_clause 0x3
	buffer_load_dword v58, off, s[60:63], 0 offset:32
	buffer_load_dword v59, off, s[60:63], 0 offset:36
	;; [unrolled: 1-line block ×4, first 2 shown]
	s_waitcnt lgkmcnt(5)
	v_mul_f64 v[12:13], v[50:51], v[102:103]
	v_mul_f64 v[14:15], v[50:51], v[100:101]
	s_waitcnt lgkmcnt(4)
	v_mul_f64 v[16:17], v[46:47], v[98:99]
	v_mul_f64 v[18:19], v[46:47], v[96:97]
	s_waitcnt lgkmcnt(3)
	v_mul_f64 v[28:29], v[38:39], v[10:11]
	v_mul_f64 v[30:31], v[38:39], v[8:9]
	s_waitcnt lgkmcnt(2)
	v_mul_f64 v[32:33], v[42:43], v[6:7]
	v_mul_f64 v[34:35], v[42:43], v[4:5]
	s_mov_b32 s10, 0x37e14327
	s_mov_b32 s18, 0xe976ee23
	;; [unrolled: 1-line block ×14, first 2 shown]
	v_fma_f64 v[12:13], v[48:49], v[100:101], v[12:13]
	v_fma_f64 v[14:15], v[48:49], v[102:103], -v[14:15]
	v_fma_f64 v[16:17], v[44:45], v[96:97], v[16:17]
	v_fma_f64 v[18:19], v[44:45], v[98:99], -v[18:19]
	;; [unrolled: 2-line block ×4, first 2 shown]
	s_mov_b32 s23, 0xbfe77f67
	s_mov_b32 s27, 0x3fd5d0dc
	;; [unrolled: 1-line block ×6, first 2 shown]
	s_waitcnt vmcnt(0) lgkmcnt(0)
	v_mul_f64 v[20:21], v[60:61], v[106:107]
	v_mul_f64 v[22:23], v[60:61], v[104:105]
	s_clause 0x3
	buffer_load_dword v60, off, s[60:63], 0 offset:48
	buffer_load_dword v61, off, s[60:63], 0 offset:52
	;; [unrolled: 1-line block ×4, first 2 shown]
	s_waitcnt vmcnt(0)
	s_barrier
	buffer_gl0_inv
	v_fma_f64 v[20:21], v[58:59], v[104:105], v[20:21]
	v_fma_f64 v[22:23], v[58:59], v[106:107], -v[22:23]
	v_add_f64 v[28:29], v[12:13], v[20:21]
	v_add_f64 v[30:31], v[14:15], v[22:23]
	v_mul_f64 v[24:25], v[62:63], v[94:95]
	v_mul_f64 v[26:27], v[62:63], v[92:93]
	v_fma_f64 v[24:25], v[60:61], v[92:93], v[24:25]
	v_fma_f64 v[26:27], v[60:61], v[94:95], -v[26:27]
	v_add_f64 v[32:33], v[16:17], v[24:25]
	v_add_f64 v[34:35], v[18:19], v[26:27]
	v_add_f64 v[16:17], v[16:17], -v[24:25]
	v_add_f64 v[18:19], v[18:19], -v[26:27]
	v_add_f64 v[24:25], v[8:9], v[4:5]
	v_add_f64 v[26:27], v[10:11], v[6:7]
	v_add_f64 v[4:5], v[4:5], -v[8:9]
	v_add_f64 v[6:7], v[6:7], -v[10:11]
	;; [unrolled: 1-line block ×4, first 2 shown]
	v_add_f64 v[12:13], v[32:33], v[28:29]
	v_add_f64 v[14:15], v[34:35], v[30:31]
	v_add_f64 v[20:21], v[28:29], -v[24:25]
	v_add_f64 v[22:23], v[30:31], -v[26:27]
	;; [unrolled: 1-line block ×6, first 2 shown]
	v_add_f64 v[16:17], v[4:5], v[16:17]
	v_add_f64 v[18:19], v[6:7], v[18:19]
	v_add_f64 v[4:5], v[8:9], -v[4:5]
	v_add_f64 v[6:7], v[10:11], -v[6:7]
	;; [unrolled: 1-line block ×4, first 2 shown]
	v_add_f64 v[12:13], v[24:25], v[12:13]
	v_add_f64 v[14:15], v[26:27], v[14:15]
	v_add_f64 v[24:25], v[24:25], -v[32:33]
	v_add_f64 v[26:27], v[26:27], -v[34:35]
	v_mul_f64 v[20:21], v[20:21], s[10:11]
	v_mul_f64 v[22:23], v[22:23], s[10:11]
	;; [unrolled: 1-line block ×6, first 2 shown]
	v_add_f64 v[8:9], v[16:17], v[8:9]
	v_add_f64 v[10:11], v[18:19], v[10:11]
	;; [unrolled: 1-line block ×4, first 2 shown]
	v_mul_f64 v[32:33], v[24:25], s[8:9]
	v_mul_f64 v[34:35], v[26:27], s[8:9]
	v_fma_f64 v[16:17], v[24:25], s[8:9], v[20:21]
	v_fma_f64 v[18:19], v[26:27], s[8:9], v[22:23]
	;; [unrolled: 1-line block ×4, first 2 shown]
	v_fma_f64 v[4:5], v[4:5], s[26:27], -v[44:45]
	v_fma_f64 v[6:7], v[6:7], s[26:27], -v[46:47]
	;; [unrolled: 1-line block ×6, first 2 shown]
	v_fma_f64 v[12:13], v[12:13], s[16:17], v[0:1]
	v_fma_f64 v[14:15], v[14:15], s[16:17], v[2:3]
	v_fma_f64 v[28:29], v[28:29], s[20:21], -v[32:33]
	v_fma_f64 v[30:31], v[30:31], s[20:21], -v[34:35]
	v_fma_f64 v[24:25], v[8:9], s[28:29], v[24:25]
	v_fma_f64 v[26:27], v[10:11], s[28:29], v[26:27]
	;; [unrolled: 1-line block ×6, first 2 shown]
	v_add_f64 v[16:17], v[16:17], v[12:13]
	v_add_f64 v[18:19], v[18:19], v[14:15]
	;; [unrolled: 1-line block ×7, first 2 shown]
	v_add_f64 v[6:7], v[18:19], -v[24:25]
	v_add_f64 v[8:9], v[44:45], v[20:21]
	v_add_f64 v[10:11], v[22:23], -v[46:47]
	v_add_f64 v[36:37], v[12:13], -v[34:35]
	v_add_f64 v[38:39], v[32:33], v[14:15]
	v_add_f64 v[40:41], v[34:35], v[12:13]
	v_add_f64 v[42:43], v[14:15], -v[32:33]
	v_add_f64 v[44:45], v[20:21], -v[44:45]
	v_add_f64 v[46:47], v[46:47], v[22:23]
	v_add_f64 v[48:49], v[16:17], -v[26:27]
	v_add_f64 v[50:51], v[24:25], v[18:19]
	ds_write_b128 v176, v[0:3]
	ds_write_b128 v176, v[4:7] offset:272
	ds_write_b128 v176, v[8:11] offset:544
	;; [unrolled: 1-line block ×6, first 2 shown]
	s_and_saveexec_b32 s1, s0
	s_cbranch_execz .LBB0_21
; %bb.20:
	s_clause 0xf
	buffer_load_dword v34, off, s[60:63], 0 offset:128
	buffer_load_dword v35, off, s[60:63], 0 offset:132
	;; [unrolled: 1-line block ×16, first 2 shown]
	v_mul_f64 v[18:19], v[56:57], v[154:155]
	v_mul_f64 v[20:21], v[56:57], v[152:153]
	v_fma_f64 v[18:19], v[54:55], v[152:153], v[18:19]
	v_fma_f64 v[20:21], v[54:55], v[154:155], -v[20:21]
	s_waitcnt vmcnt(12)
	v_mul_f64 v[0:1], v[36:37], v[148:149]
	s_waitcnt vmcnt(8)
	v_mul_f64 v[2:3], v[30:31], v[168:169]
	v_mul_f64 v[8:9], v[30:31], v[170:171]
	s_clause 0x3
	buffer_load_dword v30, off, s[60:63], 0 offset:112
	buffer_load_dword v31, off, s[60:63], 0 offset:116
	;; [unrolled: 1-line block ×4, first 2 shown]
	s_waitcnt vmcnt(8)
	v_mul_f64 v[4:5], v[40:41], v[160:161]
	s_waitcnt vmcnt(4)
	v_mul_f64 v[6:7], v[26:27], v[172:173]
	v_mul_f64 v[10:11], v[36:37], v[150:151]
	;; [unrolled: 1-line block ×4, first 2 shown]
	v_fma_f64 v[0:1], v[34:35], v[150:151], -v[0:1]
	v_fma_f64 v[2:3], v[28:29], v[170:171], -v[2:3]
	v_fma_f64 v[8:9], v[28:29], v[168:169], v[8:9]
	v_fma_f64 v[4:5], v[38:39], v[162:163], -v[4:5]
	v_fma_f64 v[6:7], v[24:25], v[174:175], -v[6:7]
	v_fma_f64 v[10:11], v[34:35], v[148:149], v[10:11]
	v_fma_f64 v[12:13], v[24:25], v[172:173], v[12:13]
	;; [unrolled: 1-line block ×3, first 2 shown]
	v_add_f64 v[24:25], v[2:3], v[0:1]
	v_add_f64 v[26:27], v[6:7], v[4:5]
	;; [unrolled: 1-line block ×3, first 2 shown]
	v_add_f64 v[8:9], v[8:9], -v[10:11]
	v_add_f64 v[4:5], v[6:7], -v[4:5]
	;; [unrolled: 1-line block ×3, first 2 shown]
	v_add_f64 v[10:11], v[26:27], v[24:25]
	v_add_f64 v[38:39], v[4:5], -v[6:7]
	v_mul_f64 v[46:47], v[38:39], s[2:3]
	s_waitcnt vmcnt(0)
	v_mul_f64 v[16:17], v[32:33], v[237:238]
	v_mul_f64 v[22:23], v[32:33], v[235:236]
	v_fma_f64 v[16:17], v[30:31], v[235:236], v[16:17]
	v_fma_f64 v[22:23], v[30:31], v[237:238], -v[22:23]
	v_add_f64 v[30:31], v[12:13], v[14:15]
	v_add_f64 v[12:13], v[12:13], -v[14:15]
	v_add_f64 v[32:33], v[16:17], -v[18:19]
	v_add_f64 v[14:15], v[20:21], v[22:23]
	v_add_f64 v[16:17], v[18:19], v[16:17]
	v_add_f64 v[18:19], v[22:23], -v[20:21]
	v_add_f64 v[0:1], v[30:31], v[28:29]
	v_add_f64 v[34:35], v[12:13], -v[8:9]
	v_add_f64 v[2:3], v[32:33], -v[12:13]
	;; [unrolled: 1-line block ×4, first 2 shown]
	v_add_f64 v[10:11], v[14:15], v[10:11]
	v_add_f64 v[14:15], v[14:15], -v[26:27]
	v_add_f64 v[36:37], v[18:19], -v[4:5]
	v_add_f64 v[40:41], v[16:17], v[0:1]
	v_add_f64 v[16:17], v[16:17], -v[30:31]
	v_add_f64 v[42:43], v[8:9], -v[32:33]
	v_add_f64 v[12:13], v[32:33], v[12:13]
	v_add_f64 v[4:5], v[18:19], v[4:5]
	v_mul_f64 v[44:45], v[34:35], s[2:3]
	v_add_f64 v[18:19], v[6:7], -v[18:19]
	v_add_f64 v[24:25], v[26:27], -v[24:25]
	;; [unrolled: 1-line block ×3, first 2 shown]
	v_mul_f64 v[32:33], v[2:3], s[18:19]
	v_mul_f64 v[20:21], v[20:21], s[10:11]
	;; [unrolled: 1-line block ×3, first 2 shown]
	v_add_f64 v[2:3], v[158:159], v[10:11]
	v_mul_f64 v[26:27], v[14:15], s[8:9]
	v_mul_f64 v[36:37], v[36:37], s[18:19]
	v_add_f64 v[0:1], v[156:157], v[40:41]
	v_mul_f64 v[30:31], v[16:17], s[8:9]
	v_add_f64 v[8:9], v[12:13], v[8:9]
	v_add_f64 v[4:5], v[4:5], v[6:7]
	v_fma_f64 v[6:7], v[42:43], s[24:25], v[32:33]
	v_fma_f64 v[12:13], v[14:15], s[8:9], v[20:21]
	v_fma_f64 v[14:15], v[16:17], s[8:9], v[22:23]
	v_fma_f64 v[16:17], v[42:43], s[26:27], -v[44:45]
	v_fma_f64 v[32:33], v[34:35], s[2:3], -v[32:33]
	v_fma_f64 v[10:11], v[10:11], s[16:17], v[2:3]
	v_fma_f64 v[20:21], v[24:25], s[22:23], -v[20:21]
	v_fma_f64 v[24:25], v[24:25], s[20:21], -v[26:27]
	v_fma_f64 v[26:27], v[18:19], s[24:25], v[36:37]
	;; [unrolled: 3-line block ×4, first 2 shown]
	v_fma_f64 v[16:17], v[8:9], s[28:29], v[16:17]
	v_fma_f64 v[8:9], v[8:9], s[28:29], v[32:33]
	v_add_f64 v[12:13], v[12:13], v[10:11]
	v_add_f64 v[20:21], v[20:21], v[10:11]
	;; [unrolled: 1-line block ×3, first 2 shown]
	v_fma_f64 v[32:33], v[4:5], s[28:29], v[26:27]
	v_fma_f64 v[38:39], v[4:5], s[28:29], v[18:19]
	;; [unrolled: 1-line block ×3, first 2 shown]
	v_add_f64 v[34:35], v[14:15], v[36:37]
	v_add_f64 v[40:41], v[22:23], v[36:37]
	v_add_f64 v[28:29], v[28:29], v[36:37]
	v_add_f64 v[26:27], v[12:13], -v[30:31]
	v_add_f64 v[10:11], v[16:17], v[20:21]
	v_add_f64 v[14:15], v[24:25], -v[8:9]
	v_add_f64 v[18:19], v[8:9], v[24:25]
	;; [unrolled: 2-line block ×3, first 2 shown]
	v_add_f64 v[24:25], v[32:33], v[34:35]
	v_add_f64 v[20:21], v[38:39], v[40:41]
	v_add_f64 v[16:17], v[28:29], -v[4:5]
	v_add_f64 v[12:13], v[4:5], v[28:29]
	v_add_f64 v[8:9], v[40:41], -v[38:39]
	v_add_f64 v[4:5], v[34:35], -v[32:33]
	v_mov_b32_e32 v28, 0x77
	v_mul_u32_u24_sdwa v28, v52, v28 dst_sel:DWORD dst_unused:UNUSED_PAD src0_sel:WORD_0 src1_sel:DWORD
	v_add_lshl_u32 v28, v28, v53, 4
	ds_write_b128 v28, v[0:3]
	ds_write_b128 v28, v[24:27] offset:272
	ds_write_b128 v28, v[20:23] offset:544
	;; [unrolled: 1-line block ×6, first 2 shown]
.LBB0_21:
	s_or_b32 exec_lo, exec_lo, s1
	s_waitcnt lgkmcnt(0)
	s_barrier
	buffer_gl0_inv
	ds_read_b128 v[0:3], v255 offset:1904
	ds_read_b128 v[4:7], v255 offset:15232
	;; [unrolled: 1-line block ×7, first 2 shown]
	s_clause 0x3
	buffer_load_dword v56, off, s[60:63], 0 offset:64
	buffer_load_dword v57, off, s[60:63], 0 offset:68
	;; [unrolled: 1-line block ×4, first 2 shown]
	ds_read_b128 v[28:31], v255 offset:11424
	s_mov_b32 s2, 0x8c811c17
	s_mov_b32 s8, 0xa2cf5039
	;; [unrolled: 1-line block ×8, first 2 shown]
	s_waitcnt lgkmcnt(7)
	v_mul_f64 v[32:33], v[74:75], v[2:3]
	v_mul_f64 v[34:35], v[74:75], v[0:1]
	s_waitcnt lgkmcnt(6)
	v_mul_f64 v[36:37], v[82:83], v[6:7]
	v_mul_f64 v[38:39], v[82:83], v[4:5]
	;; [unrolled: 3-line block ×5, first 2 shown]
	v_fma_f64 v[32:33], v[72:73], v[0:1], v[32:33]
	v_fma_f64 v[34:35], v[72:73], v[2:3], -v[34:35]
	ds_read_b128 v[0:3], v255
	v_fma_f64 v[4:5], v[80:81], v[4:5], v[36:37]
	v_fma_f64 v[6:7], v[80:81], v[6:7], -v[38:39]
	v_fma_f64 v[8:9], v[76:77], v[8:9], v[40:41]
	v_fma_f64 v[10:11], v[76:77], v[10:11], -v[42:43]
	;; [unrolled: 2-line block ×4, first 2 shown]
	s_waitcnt lgkmcnt(2)
	v_mul_f64 v[36:37], v[70:71], v[26:27]
	v_mul_f64 v[38:39], v[70:71], v[24:25]
	s_waitcnt lgkmcnt(1)
	v_mul_f64 v[40:41], v[66:67], v[30:31]
	v_mul_f64 v[42:43], v[66:67], v[28:29]
	v_add_f64 v[52:53], v[16:17], v[20:21]
	v_add_f64 v[54:55], v[18:19], v[22:23]
	v_fma_f64 v[24:25], v[68:69], v[24:25], v[36:37]
	v_fma_f64 v[26:27], v[68:69], v[26:27], -v[38:39]
	v_fma_f64 v[28:29], v[64:65], v[28:29], v[40:41]
	v_fma_f64 v[30:31], v[64:65], v[30:31], -v[42:43]
	v_add_f64 v[16:17], v[16:17], -v[20:21]
	v_add_f64 v[18:19], v[18:19], -v[22:23]
	s_waitcnt lgkmcnt(0)
	v_fma_f64 v[60:61], v[52:53], s[8:9], v[0:1]
	v_fma_f64 v[62:63], v[54:55], s[8:9], v[2:3]
	v_add_f64 v[68:69], v[24:25], v[28:29]
	v_add_f64 v[70:71], v[26:27], v[30:31]
	v_add_f64 v[24:25], v[24:25], -v[28:29]
	v_add_f64 v[26:27], v[26:27], -v[30:31]
	v_add_f64 v[76:77], v[0:1], v[68:69]
	v_add_f64 v[78:79], v[2:3], v[70:71]
	s_waitcnt vmcnt(0)
	v_mul_f64 v[44:45], v[58:59], v[14:15]
	v_mul_f64 v[46:47], v[58:59], v[12:13]
	v_fma_f64 v[12:13], v[56:57], v[12:13], v[44:45]
	v_fma_f64 v[14:15], v[56:57], v[14:15], -v[46:47]
	v_add_f64 v[44:45], v[32:33], -v[4:5]
	v_add_f64 v[46:47], v[34:35], -v[6:7]
	v_add_f64 v[4:5], v[32:33], v[4:5]
	v_add_f64 v[6:7], v[34:35], v[6:7]
	;; [unrolled: 1-line block ×4, first 2 shown]
	v_add_f64 v[48:49], v[8:9], -v[12:13]
	v_add_f64 v[50:51], v[10:11], -v[14:15]
	v_mul_f64 v[20:21], v[44:45], s[0:1]
	v_mul_f64 v[22:23], v[46:47], s[0:1]
	v_fma_f64 v[36:37], v[4:5], s[8:9], v[0:1]
	v_fma_f64 v[38:39], v[6:7], s[8:9], v[2:3]
	s_mov_b32 s1, 0xbfe491b7
	v_add_f64 v[72:73], v[52:53], v[4:5]
	v_add_f64 v[74:75], v[54:55], v[6:7]
	v_fma_f64 v[40:41], v[32:33], s[8:9], v[0:1]
	v_fma_f64 v[42:43], v[34:35], s[8:9], v[2:3]
	v_mul_f64 v[56:57], v[48:49], s[2:3]
	v_mul_f64 v[58:59], v[50:51], s[2:3]
	;; [unrolled: 1-line block ×4, first 2 shown]
	v_fma_f64 v[20:21], v[16:17], s[2:3], v[20:21]
	v_fma_f64 v[22:23], v[18:19], s[2:3], v[22:23]
	;; [unrolled: 1-line block ×4, first 2 shown]
	v_add_f64 v[80:81], v[32:33], v[72:73]
	v_add_f64 v[82:83], v[34:35], v[74:75]
	;; [unrolled: 1-line block ×4, first 2 shown]
	s_mov_b32 s8, 0xe8584cab
	s_mov_b32 s9, 0x3febb67a
	v_fma_f64 v[36:37], v[4:5], s[10:11], v[40:41]
	v_fma_f64 v[38:39], v[6:7], s[10:11], v[42:43]
	v_fma_f64 v[40:41], v[16:17], s[0:1], -v[56:57]
	v_fma_f64 v[42:43], v[18:19], s[0:1], -v[58:59]
	v_fma_f64 v[56:57], v[32:33], s[10:11], v[60:61]
	v_fma_f64 v[58:59], v[34:35], s[10:11], v[62:63]
	;; [unrolled: 1-line block ×4, first 2 shown]
	v_add_f64 v[64:65], v[48:49], v[44:45]
	v_add_f64 v[66:67], v[50:51], v[46:47]
	s_mov_b32 s1, 0xbfebb67a
	s_mov_b32 s0, s8
	v_fma_f64 v[20:21], v[24:25], s[8:9], v[20:21]
	v_fma_f64 v[22:23], v[26:27], s[8:9], v[22:23]
	v_fma_f64 v[28:29], v[68:69], -0.5, v[28:29]
	v_fma_f64 v[30:31], v[70:71], -0.5, v[30:31]
	v_add_f64 v[8:9], v[8:9], v[72:73]
	v_add_f64 v[10:11], v[10:11], v[74:75]
	s_mov_b32 s2, 0x748a0bf8
	s_mov_b32 s10, 0x42522d1b
	;; [unrolled: 1-line block ×4, first 2 shown]
	v_fma_f64 v[36:37], v[68:69], -0.5, v[36:37]
	v_fma_f64 v[38:39], v[70:71], -0.5, v[38:39]
	v_fma_f64 v[40:41], v[24:25], s[8:9], v[40:41]
	v_fma_f64 v[42:43], v[26:27], s[8:9], v[42:43]
	v_fma_f64 v[56:57], v[68:69], -0.5, v[56:57]
	v_fma_f64 v[58:59], v[70:71], -0.5, v[58:59]
	v_fma_f64 v[26:27], v[26:27], s[0:1], v[60:61]
	v_fma_f64 v[24:25], v[24:25], s[0:1], v[62:63]
	v_add_f64 v[60:61], v[64:65], -v[16:17]
	v_add_f64 v[62:63], v[66:67], -v[18:19]
	v_fma_f64 v[64:65], v[80:81], -0.5, v[76:77]
	v_fma_f64 v[66:67], v[82:83], -0.5, v[78:79]
	v_fma_f64 v[48:49], v[48:49], s[2:3], v[20:21]
	v_fma_f64 v[50:51], v[50:51], s[2:3], v[22:23]
	;; [unrolled: 1-line block ×12, first 2 shown]
	v_add_f64 v[44:45], v[12:13], v[8:9]
	v_add_f64 v[46:47], v[14:15], v[10:11]
	v_mul_f64 v[24:25], v[60:61], s[8:9]
	v_mul_f64 v[26:27], v[62:63], s[8:9]
	v_fma_f64 v[4:5], v[62:63], s[0:1], v[64:65]
	v_fma_f64 v[6:7], v[60:61], s[8:9], v[66:67]
	v_add_f64 v[8:9], v[20:21], -v[50:51]
	v_add_f64 v[10:11], v[48:49], v[22:23]
	v_add_f64 v[12:13], v[36:37], -v[34:35]
	v_add_f64 v[14:15], v[32:33], v[38:39]
	v_add_f64 v[16:17], v[28:29], -v[40:41]
	v_add_f64 v[18:19], v[42:43], v[30:31]
	v_add_f64 v[0:1], v[0:1], v[44:45]
	v_add_f64 v[2:3], v[2:3], v[46:47]
	v_fma_f64 v[20:21], v[26:27], 2.0, v[4:5]
	v_fma_f64 v[22:23], v[24:25], -2.0, v[6:7]
	v_fma_f64 v[24:25], v[50:51], 2.0, v[8:9]
	v_fma_f64 v[26:27], v[48:49], -2.0, v[10:11]
	;; [unrolled: 2-line block ×4, first 2 shown]
	ds_write_b128 v255, v[4:7] offset:5712
	ds_write_b128 v255, v[0:3]
	ds_write_b128 v255, v[8:11] offset:1904
	ds_write_b128 v255, v[12:15] offset:7616
	;; [unrolled: 1-line block ×7, first 2 shown]
	s_waitcnt lgkmcnt(0)
	s_barrier
	buffer_gl0_inv
	s_and_b32 exec_lo, exec_lo, vcc_lo
	s_cbranch_execz .LBB0_23
; %bb.22:
	global_load_dwordx4 v[0:3], v255, s[12:13]
	ds_read_b128 v[4:7], v255
	ds_read_b128 v[8:11], v255 offset:1008
	ds_read_b128 v[12:15], v255 offset:16128
	s_clause 0x2
	buffer_load_dword v18, off, s[60:63], 0 offset:4
	buffer_load_dword v19, off, s[60:63], 0 offset:8
	buffer_load_dword v21, off, s[60:63], 0
	s_mov_b32 s0, 0x1e98801f
	s_mov_b32 s1, 0x3f4e9880
	s_mul_i32 s2, s5, 0x3f0
	s_mul_hi_u32 s3, s4, 0x3f0
	s_add_i32 s3, s3, s2
	s_waitcnt vmcnt(3) lgkmcnt(2)
	v_mul_f64 v[16:17], v[6:7], v[2:3]
	v_mul_f64 v[2:3], v[4:5], v[2:3]
	s_waitcnt vmcnt(2)
	v_mov_b32_e32 v20, v18
	s_waitcnt vmcnt(1)
	v_mad_u64_u32 v[18:19], null, s6, v20, 0
	v_fma_f64 v[4:5], v[4:5], v[0:1], v[16:17]
	v_fma_f64 v[2:3], v[0:1], v[6:7], -v[2:3]
	s_waitcnt vmcnt(0)
	v_mad_u64_u32 v[6:7], null, s4, v21, 0
	v_mov_b32_e32 v0, v19
	s_mulk_i32 s4, 0x3f0
	v_mov_b32_e32 v1, v7
	v_mad_u64_u32 v[16:17], null, s7, v20, v[0:1]
	v_mov_b32_e32 v19, v16
	v_mad_u64_u32 v[20:21], null, s5, v21, v[1:2]
	v_mul_f64 v[0:1], v[4:5], s[0:1]
	v_mul_f64 v[2:3], v[2:3], s[0:1]
	v_lshlrev_b64 v[4:5], 4, v[18:19]
	v_mov_b32_e32 v7, v20
	v_add_co_u32 v20, s2, s12, v255
	v_add_co_u32 v4, vcc_lo, s14, v4
	v_lshlrev_b64 v[6:7], 4, v[6:7]
	v_add_co_ci_u32_e32 v5, vcc_lo, s15, v5, vcc_lo
	v_add_co_ci_u32_e64 v21, null, s13, 0, s2
	v_add_co_u32 v4, vcc_lo, v4, v6
	v_add_co_ci_u32_e32 v5, vcc_lo, v5, v7, vcc_lo
	v_add_co_u32 v16, vcc_lo, v4, s4
	global_store_dwordx4 v[4:5], v[0:3], off
	global_load_dwordx4 v[0:3], v255, s[12:13] offset:1008
	v_add_co_ci_u32_e32 v17, vcc_lo, s3, v5, vcc_lo
	s_waitcnt vmcnt(0) lgkmcnt(1)
	v_mul_f64 v[6:7], v[10:11], v[2:3]
	v_mul_f64 v[2:3], v[8:9], v[2:3]
	v_fma_f64 v[6:7], v[8:9], v[0:1], v[6:7]
	v_fma_f64 v[2:3], v[0:1], v[10:11], -v[2:3]
	v_mul_f64 v[0:1], v[6:7], s[0:1]
	v_mul_f64 v[2:3], v[2:3], s[0:1]
	global_store_dwordx4 v[16:17], v[0:3], off
	global_load_dwordx4 v[0:3], v255, s[12:13] offset:2016
	ds_read_b128 v[4:7], v255 offset:2016
	ds_read_b128 v[8:11], v255 offset:3024
	s_waitcnt vmcnt(0) lgkmcnt(1)
	v_mul_f64 v[18:19], v[6:7], v[2:3]
	v_mul_f64 v[2:3], v[4:5], v[2:3]
	v_fma_f64 v[4:5], v[4:5], v[0:1], v[18:19]
	v_fma_f64 v[2:3], v[0:1], v[6:7], -v[2:3]
	v_mul_f64 v[0:1], v[4:5], s[0:1]
	v_mul_f64 v[2:3], v[2:3], s[0:1]
	v_add_co_u32 v4, vcc_lo, v16, s4
	v_add_co_ci_u32_e32 v5, vcc_lo, s3, v17, vcc_lo
	v_add_co_u32 v6, vcc_lo, 0x800, v20
	v_add_co_ci_u32_e32 v7, vcc_lo, 0, v21, vcc_lo
	global_store_dwordx4 v[4:5], v[0:3], off
	global_load_dwordx4 v[0:3], v[6:7], off offset:976
	s_waitcnt vmcnt(0) lgkmcnt(0)
	v_mul_f64 v[16:17], v[10:11], v[2:3]
	v_mul_f64 v[2:3], v[8:9], v[2:3]
	v_fma_f64 v[8:9], v[8:9], v[0:1], v[16:17]
	v_fma_f64 v[2:3], v[0:1], v[10:11], -v[2:3]
	v_add_co_u32 v16, vcc_lo, v4, s4
	v_add_co_ci_u32_e32 v17, vcc_lo, s3, v5, vcc_lo
	v_mul_f64 v[0:1], v[8:9], s[0:1]
	v_mul_f64 v[2:3], v[2:3], s[0:1]
	global_store_dwordx4 v[16:17], v[0:3], off
	global_load_dwordx4 v[0:3], v[6:7], off offset:1984
	ds_read_b128 v[4:7], v255 offset:4032
	ds_read_b128 v[8:11], v255 offset:5040
	s_waitcnt vmcnt(0) lgkmcnt(1)
	v_mul_f64 v[18:19], v[6:7], v[2:3]
	v_mul_f64 v[2:3], v[4:5], v[2:3]
	v_fma_f64 v[4:5], v[4:5], v[0:1], v[18:19]
	v_fma_f64 v[2:3], v[0:1], v[6:7], -v[2:3]
	v_mul_f64 v[0:1], v[4:5], s[0:1]
	v_mul_f64 v[2:3], v[2:3], s[0:1]
	v_add_co_u32 v4, vcc_lo, v16, s4
	v_add_co_ci_u32_e32 v5, vcc_lo, s3, v17, vcc_lo
	v_add_co_u32 v6, vcc_lo, 0x1000, v20
	v_add_co_ci_u32_e32 v7, vcc_lo, 0, v21, vcc_lo
	global_store_dwordx4 v[4:5], v[0:3], off
	global_load_dwordx4 v[0:3], v[6:7], off offset:944
	s_waitcnt vmcnt(0) lgkmcnt(0)
	v_mul_f64 v[16:17], v[10:11], v[2:3]
	v_mul_f64 v[2:3], v[8:9], v[2:3]
	v_fma_f64 v[8:9], v[8:9], v[0:1], v[16:17]
	v_fma_f64 v[2:3], v[0:1], v[10:11], -v[2:3]
	v_add_co_u32 v16, vcc_lo, v4, s4
	v_add_co_ci_u32_e32 v17, vcc_lo, s3, v5, vcc_lo
	v_mul_f64 v[0:1], v[8:9], s[0:1]
	v_mul_f64 v[2:3], v[2:3], s[0:1]
	global_store_dwordx4 v[16:17], v[0:3], off
	global_load_dwordx4 v[0:3], v[6:7], off offset:1952
	;; [unrolled: 26-line block ×6, first 2 shown]
	ds_read_b128 v[4:7], v255 offset:14112
	ds_read_b128 v[8:11], v255 offset:15120
	s_waitcnt vmcnt(0) lgkmcnt(1)
	v_mul_f64 v[18:19], v[6:7], v[2:3]
	v_mul_f64 v[2:3], v[4:5], v[2:3]
	v_fma_f64 v[4:5], v[4:5], v[0:1], v[18:19]
	v_fma_f64 v[2:3], v[0:1], v[6:7], -v[2:3]
	v_mul_f64 v[0:1], v[4:5], s[0:1]
	v_mul_f64 v[2:3], v[2:3], s[0:1]
	v_add_co_u32 v4, vcc_lo, v16, s4
	v_add_co_ci_u32_e32 v5, vcc_lo, s3, v17, vcc_lo
	v_add_co_u32 v6, vcc_lo, 0x3800, v20
	v_add_co_ci_u32_e32 v7, vcc_lo, 0, v21, vcc_lo
	global_store_dwordx4 v[4:5], v[0:3], off
	global_load_dwordx4 v[0:3], v[6:7], off offset:784
	v_add_co_u32 v4, vcc_lo, v4, s4
	v_add_co_ci_u32_e32 v5, vcc_lo, s3, v5, vcc_lo
	s_waitcnt vmcnt(0) lgkmcnt(0)
	v_mul_f64 v[16:17], v[10:11], v[2:3]
	v_mul_f64 v[2:3], v[8:9], v[2:3]
	v_fma_f64 v[8:9], v[8:9], v[0:1], v[16:17]
	v_fma_f64 v[2:3], v[0:1], v[10:11], -v[2:3]
	v_mul_f64 v[0:1], v[8:9], s[0:1]
	v_mul_f64 v[2:3], v[2:3], s[0:1]
	global_store_dwordx4 v[4:5], v[0:3], off
	global_load_dwordx4 v[0:3], v[6:7], off offset:1792
	v_add_co_u32 v4, vcc_lo, v4, s4
	v_add_co_ci_u32_e32 v5, vcc_lo, s3, v5, vcc_lo
	s_waitcnt vmcnt(0)
	v_mul_f64 v[6:7], v[14:15], v[2:3]
	v_mul_f64 v[2:3], v[12:13], v[2:3]
	v_fma_f64 v[6:7], v[12:13], v[0:1], v[6:7]
	v_fma_f64 v[2:3], v[0:1], v[14:15], -v[2:3]
	v_mul_f64 v[0:1], v[6:7], s[0:1]
	v_mul_f64 v[2:3], v[2:3], s[0:1]
	global_store_dwordx4 v[4:5], v[0:3], off
.LBB0_23:
	s_endpgm
	.section	.rodata,"a",@progbits
	.p2align	6, 0x0
	.amdhsa_kernel bluestein_single_back_len1071_dim1_dp_op_CI_CI
		.amdhsa_group_segment_fixed_size 17136
		.amdhsa_private_segment_fixed_size 652
		.amdhsa_kernarg_size 104
		.amdhsa_user_sgpr_count 6
		.amdhsa_user_sgpr_private_segment_buffer 1
		.amdhsa_user_sgpr_dispatch_ptr 0
		.amdhsa_user_sgpr_queue_ptr 0
		.amdhsa_user_sgpr_kernarg_segment_ptr 1
		.amdhsa_user_sgpr_dispatch_id 0
		.amdhsa_user_sgpr_flat_scratch_init 0
		.amdhsa_user_sgpr_private_segment_size 0
		.amdhsa_wavefront_size32 1
		.amdhsa_uses_dynamic_stack 0
		.amdhsa_system_sgpr_private_segment_wavefront_offset 1
		.amdhsa_system_sgpr_workgroup_id_x 1
		.amdhsa_system_sgpr_workgroup_id_y 0
		.amdhsa_system_sgpr_workgroup_id_z 0
		.amdhsa_system_sgpr_workgroup_info 0
		.amdhsa_system_vgpr_workitem_id 0
		.amdhsa_next_free_vgpr 256
		.amdhsa_next_free_sgpr 64
		.amdhsa_reserve_vcc 1
		.amdhsa_reserve_flat_scratch 0
		.amdhsa_float_round_mode_32 0
		.amdhsa_float_round_mode_16_64 0
		.amdhsa_float_denorm_mode_32 3
		.amdhsa_float_denorm_mode_16_64 3
		.amdhsa_dx10_clamp 1
		.amdhsa_ieee_mode 1
		.amdhsa_fp16_overflow 0
		.amdhsa_workgroup_processor_mode 1
		.amdhsa_memory_ordered 1
		.amdhsa_forward_progress 0
		.amdhsa_shared_vgpr_count 0
		.amdhsa_exception_fp_ieee_invalid_op 0
		.amdhsa_exception_fp_denorm_src 0
		.amdhsa_exception_fp_ieee_div_zero 0
		.amdhsa_exception_fp_ieee_overflow 0
		.amdhsa_exception_fp_ieee_underflow 0
		.amdhsa_exception_fp_ieee_inexact 0
		.amdhsa_exception_int_div_zero 0
	.end_amdhsa_kernel
	.text
.Lfunc_end0:
	.size	bluestein_single_back_len1071_dim1_dp_op_CI_CI, .Lfunc_end0-bluestein_single_back_len1071_dim1_dp_op_CI_CI
                                        ; -- End function
	.section	.AMDGPU.csdata,"",@progbits
; Kernel info:
; codeLenInByte = 32276
; NumSgprs: 66
; NumVgprs: 256
; ScratchSize: 652
; MemoryBound: 0
; FloatMode: 240
; IeeeMode: 1
; LDSByteSize: 17136 bytes/workgroup (compile time only)
; SGPRBlocks: 8
; VGPRBlocks: 31
; NumSGPRsForWavesPerEU: 66
; NumVGPRsForWavesPerEU: 256
; Occupancy: 4
; WaveLimiterHint : 1
; COMPUTE_PGM_RSRC2:SCRATCH_EN: 1
; COMPUTE_PGM_RSRC2:USER_SGPR: 6
; COMPUTE_PGM_RSRC2:TRAP_HANDLER: 0
; COMPUTE_PGM_RSRC2:TGID_X_EN: 1
; COMPUTE_PGM_RSRC2:TGID_Y_EN: 0
; COMPUTE_PGM_RSRC2:TGID_Z_EN: 0
; COMPUTE_PGM_RSRC2:TIDIG_COMP_CNT: 0
	.text
	.p2alignl 6, 3214868480
	.fill 48, 4, 3214868480
	.type	__hip_cuid_7afdb9eaa382a195,@object ; @__hip_cuid_7afdb9eaa382a195
	.section	.bss,"aw",@nobits
	.globl	__hip_cuid_7afdb9eaa382a195
__hip_cuid_7afdb9eaa382a195:
	.byte	0                               ; 0x0
	.size	__hip_cuid_7afdb9eaa382a195, 1

	.ident	"AMD clang version 19.0.0git (https://github.com/RadeonOpenCompute/llvm-project roc-6.4.0 25133 c7fe45cf4b819c5991fe208aaa96edf142730f1d)"
	.section	".note.GNU-stack","",@progbits
	.addrsig
	.addrsig_sym __hip_cuid_7afdb9eaa382a195
	.amdgpu_metadata
---
amdhsa.kernels:
  - .args:
      - .actual_access:  read_only
        .address_space:  global
        .offset:         0
        .size:           8
        .value_kind:     global_buffer
      - .actual_access:  read_only
        .address_space:  global
        .offset:         8
        .size:           8
        .value_kind:     global_buffer
      - .actual_access:  read_only
        .address_space:  global
        .offset:         16
        .size:           8
        .value_kind:     global_buffer
      - .actual_access:  read_only
        .address_space:  global
        .offset:         24
        .size:           8
        .value_kind:     global_buffer
      - .actual_access:  read_only
        .address_space:  global
        .offset:         32
        .size:           8
        .value_kind:     global_buffer
      - .offset:         40
        .size:           8
        .value_kind:     by_value
      - .address_space:  global
        .offset:         48
        .size:           8
        .value_kind:     global_buffer
      - .address_space:  global
        .offset:         56
        .size:           8
        .value_kind:     global_buffer
      - .address_space:  global
        .offset:         64
        .size:           8
        .value_kind:     global_buffer
      - .address_space:  global
        .offset:         72
        .size:           8
        .value_kind:     global_buffer
      - .offset:         80
        .size:           4
        .value_kind:     by_value
      - .address_space:  global
        .offset:         88
        .size:           8
        .value_kind:     global_buffer
      - .address_space:  global
        .offset:         96
        .size:           8
        .value_kind:     global_buffer
    .group_segment_fixed_size: 17136
    .kernarg_segment_align: 8
    .kernarg_segment_size: 104
    .language:       OpenCL C
    .language_version:
      - 2
      - 0
    .max_flat_workgroup_size: 119
    .name:           bluestein_single_back_len1071_dim1_dp_op_CI_CI
    .private_segment_fixed_size: 652
    .sgpr_count:     66
    .sgpr_spill_count: 0
    .symbol:         bluestein_single_back_len1071_dim1_dp_op_CI_CI.kd
    .uniform_work_group_size: 1
    .uses_dynamic_stack: false
    .vgpr_count:     256
    .vgpr_spill_count: 290
    .wavefront_size: 32
    .workgroup_processor_mode: 1
amdhsa.target:   amdgcn-amd-amdhsa--gfx1030
amdhsa.version:
  - 1
  - 2
...

	.end_amdgpu_metadata
